;; amdgpu-corpus repo=ROCm/rocSPARSE kind=compiled arch=gfx1030 opt=O3
	.amdgcn_target "amdgcn-amd-amdhsa--gfx1030"
	.amdhsa_code_object_version 6
	.section	.text._ZN9rocsparseL23nnz_total_device_kernelEiPKiPi,"axG",@progbits,_ZN9rocsparseL23nnz_total_device_kernelEiPKiPi,comdat
	.globl	_ZN9rocsparseL23nnz_total_device_kernelEiPKiPi ; -- Begin function _ZN9rocsparseL23nnz_total_device_kernelEiPKiPi
	.p2align	8
	.type	_ZN9rocsparseL23nnz_total_device_kernelEiPKiPi,@function
_ZN9rocsparseL23nnz_total_device_kernelEiPKiPi: ; @_ZN9rocsparseL23nnz_total_device_kernelEiPKiPi
; %bb.0:
	s_cmp_lg_u32 0, 0
	s_cbranch_scc0 .LBB0_2
; %bb.1:
	s_endpgm
.LBB0_2:
	s_clause 0x1
	s_load_dword s6, s[4:5], 0x0
	s_load_dwordx4 s[0:3], s[4:5], 0x8
	v_mov_b32_e32 v0, 0
	s_waitcnt lgkmcnt(0)
	s_ashr_i32 s7, s6, 31
	s_lshl_b64 s[4:5], s[6:7], 2
	s_add_u32 s4, s0, s4
	s_addc_u32 s5, s1, s5
	s_clause 0x1
	s_load_dword s4, s[4:5], 0x0
	s_load_dword s0, s[0:1], 0x0
	s_waitcnt lgkmcnt(0)
	s_sub_i32 s0, s4, s0
	v_mov_b32_e32 v1, s0
	global_store_dword v0, v1, s[2:3]
	s_endpgm
	.section	.rodata,"a",@progbits
	.p2align	6, 0x0
	.amdhsa_kernel _ZN9rocsparseL23nnz_total_device_kernelEiPKiPi
		.amdhsa_group_segment_fixed_size 0
		.amdhsa_private_segment_fixed_size 0
		.amdhsa_kernarg_size 24
		.amdhsa_user_sgpr_count 6
		.amdhsa_user_sgpr_private_segment_buffer 1
		.amdhsa_user_sgpr_dispatch_ptr 0
		.amdhsa_user_sgpr_queue_ptr 0
		.amdhsa_user_sgpr_kernarg_segment_ptr 1
		.amdhsa_user_sgpr_dispatch_id 0
		.amdhsa_user_sgpr_flat_scratch_init 0
		.amdhsa_user_sgpr_private_segment_size 0
		.amdhsa_wavefront_size32 1
		.amdhsa_uses_dynamic_stack 0
		.amdhsa_system_sgpr_private_segment_wavefront_offset 0
		.amdhsa_system_sgpr_workgroup_id_x 1
		.amdhsa_system_sgpr_workgroup_id_y 0
		.amdhsa_system_sgpr_workgroup_id_z 0
		.amdhsa_system_sgpr_workgroup_info 0
		.amdhsa_system_vgpr_workitem_id 0
		.amdhsa_next_free_vgpr 2
		.amdhsa_next_free_sgpr 8
		.amdhsa_reserve_vcc 0
		.amdhsa_reserve_flat_scratch 0
		.amdhsa_float_round_mode_32 0
		.amdhsa_float_round_mode_16_64 0
		.amdhsa_float_denorm_mode_32 3
		.amdhsa_float_denorm_mode_16_64 3
		.amdhsa_dx10_clamp 1
		.amdhsa_ieee_mode 1
		.amdhsa_fp16_overflow 0
		.amdhsa_workgroup_processor_mode 1
		.amdhsa_memory_ordered 1
		.amdhsa_forward_progress 1
		.amdhsa_shared_vgpr_count 0
		.amdhsa_exception_fp_ieee_invalid_op 0
		.amdhsa_exception_fp_denorm_src 0
		.amdhsa_exception_fp_ieee_div_zero 0
		.amdhsa_exception_fp_ieee_overflow 0
		.amdhsa_exception_fp_ieee_underflow 0
		.amdhsa_exception_fp_ieee_inexact 0
		.amdhsa_exception_int_div_zero 0
	.end_amdhsa_kernel
	.section	.text._ZN9rocsparseL23nnz_total_device_kernelEiPKiPi,"axG",@progbits,_ZN9rocsparseL23nnz_total_device_kernelEiPKiPi,comdat
.Lfunc_end0:
	.size	_ZN9rocsparseL23nnz_total_device_kernelEiPKiPi, .Lfunc_end0-_ZN9rocsparseL23nnz_total_device_kernelEiPKiPi
                                        ; -- End function
	.set _ZN9rocsparseL23nnz_total_device_kernelEiPKiPi.num_vgpr, 2
	.set _ZN9rocsparseL23nnz_total_device_kernelEiPKiPi.num_agpr, 0
	.set _ZN9rocsparseL23nnz_total_device_kernelEiPKiPi.numbered_sgpr, 8
	.set _ZN9rocsparseL23nnz_total_device_kernelEiPKiPi.num_named_barrier, 0
	.set _ZN9rocsparseL23nnz_total_device_kernelEiPKiPi.private_seg_size, 0
	.set _ZN9rocsparseL23nnz_total_device_kernelEiPKiPi.uses_vcc, 0
	.set _ZN9rocsparseL23nnz_total_device_kernelEiPKiPi.uses_flat_scratch, 0
	.set _ZN9rocsparseL23nnz_total_device_kernelEiPKiPi.has_dyn_sized_stack, 0
	.set _ZN9rocsparseL23nnz_total_device_kernelEiPKiPi.has_recursion, 0
	.set _ZN9rocsparseL23nnz_total_device_kernelEiPKiPi.has_indirect_call, 0
	.section	.AMDGPU.csdata,"",@progbits
; Kernel info:
; codeLenInByte = 100
; TotalNumSgprs: 8
; NumVgprs: 2
; ScratchSize: 0
; MemoryBound: 0
; FloatMode: 240
; IeeeMode: 1
; LDSByteSize: 0 bytes/workgroup (compile time only)
; SGPRBlocks: 0
; VGPRBlocks: 0
; NumSGPRsForWavesPerEU: 8
; NumVGPRsForWavesPerEU: 2
; Occupancy: 16
; WaveLimiterHint : 0
; COMPUTE_PGM_RSRC2:SCRATCH_EN: 0
; COMPUTE_PGM_RSRC2:USER_SGPR: 6
; COMPUTE_PGM_RSRC2:TRAP_HANDLER: 0
; COMPUTE_PGM_RSRC2:TGID_X_EN: 1
; COMPUTE_PGM_RSRC2:TGID_Y_EN: 0
; COMPUTE_PGM_RSRC2:TGID_Z_EN: 0
; COMPUTE_PGM_RSRC2:TIDIG_COMP_CNT: 0
	.section	.text._ZN9rocsparseL10abs_kernelILi256EfEEviiPKT0_lPS1_,"axG",@progbits,_ZN9rocsparseL10abs_kernelILi256EfEEviiPKT0_lPS1_,comdat
	.globl	_ZN9rocsparseL10abs_kernelILi256EfEEviiPKT0_lPS1_ ; -- Begin function _ZN9rocsparseL10abs_kernelILi256EfEEviiPKT0_lPS1_
	.p2align	8
	.type	_ZN9rocsparseL10abs_kernelILi256EfEEviiPKT0_lPS1_,@function
_ZN9rocsparseL10abs_kernelILi256EfEEviiPKT0_lPS1_: ; @_ZN9rocsparseL10abs_kernelILi256EfEEviiPKT0_lPS1_
; %bb.0:
	s_load_dwordx2 s[0:1], s[4:5], 0x0
	v_lshl_or_b32 v0, s6, 8, v0
	s_waitcnt lgkmcnt(0)
	s_mul_i32 s1, s1, s0
	v_cmp_gt_i32_e32 vcc_lo, s1, v0
	s_and_saveexec_b32 s1, vcc_lo
	s_cbranch_execz .LBB1_2
; %bb.1:
	s_abs_i32 s1, s0
	v_sub_nc_u32_e32 v3, 0, v0
	v_cvt_f32_u32_e32 v1, s1
	s_sub_i32 s2, 0, s1
	s_load_dwordx4 s[8:11], s[4:5], 0x8
	v_max_i32_e32 v3, v0, v3
	v_rcp_iflag_f32_e32 v1, v1
	v_mul_f32_e32 v1, 0x4f7ffffe, v1
	v_cvt_u32_f32_e32 v1, v1
	v_mul_lo_u32 v2, s2, v1
	s_load_dwordx2 s[2:3], s[4:5], 0x18
	v_mul_hi_u32 v2, v1, v2
	v_add_nc_u32_e32 v1, v1, v2
	v_mul_hi_u32 v1, v3, v1
	v_mul_lo_u32 v2, v1, s1
	v_sub_nc_u32_e32 v2, v3, v2
	v_add_nc_u32_e32 v3, 1, v1
	v_subrev_nc_u32_e32 v4, s1, v2
	v_cmp_le_u32_e32 vcc_lo, s1, v2
	v_cndmask_b32_e32 v1, v1, v3, vcc_lo
	v_cndmask_b32_e32 v2, v2, v4, vcc_lo
	v_xor_b32_e32 v3, s0, v0
	v_add_nc_u32_e32 v4, 1, v1
	v_cmp_le_u32_e32 vcc_lo, s1, v2
	v_ashrrev_i32_e32 v3, 31, v3
	v_cndmask_b32_e32 v1, v1, v4, vcc_lo
	v_xor_b32_e32 v1, v1, v3
	v_sub_nc_u32_e32 v1, v1, v3
	v_ashrrev_i32_e32 v3, 31, v1
	v_mul_lo_u32 v4, v1, s0
	s_waitcnt lgkmcnt(0)
	v_mul_lo_u32 v5, s11, v1
	v_mad_u64_u32 v[1:2], null, s10, v1, 0
	v_mul_lo_u32 v6, s10, v3
	v_sub_nc_u32_e32 v3, v0, v4
	v_add3_u32 v2, v2, v6, v5
	v_ashrrev_i32_e32 v4, 31, v3
	v_lshlrev_b64 v[1:2], 2, v[1:2]
	v_lshlrev_b64 v[3:4], 2, v[3:4]
	v_add_co_u32 v1, vcc_lo, s8, v1
	v_add_co_ci_u32_e64 v2, null, s9, v2, vcc_lo
	v_add_co_u32 v1, vcc_lo, v1, v3
	v_add_co_ci_u32_e64 v2, null, v2, v4, vcc_lo
	global_load_dword v2, v[1:2], off
	v_ashrrev_i32_e32 v1, 31, v0
	v_lshlrev_b64 v[0:1], 2, v[0:1]
	s_waitcnt vmcnt(0)
	v_cmp_gt_f32_e32 vcc_lo, 0, v2
	v_cndmask_b32_e64 v2, v2, -v2, vcc_lo
	v_add_co_u32 v0, vcc_lo, s2, v0
	v_add_co_ci_u32_e64 v1, null, s3, v1, vcc_lo
	global_store_dword v[0:1], v2, off
.LBB1_2:
	s_endpgm
	.section	.rodata,"a",@progbits
	.p2align	6, 0x0
	.amdhsa_kernel _ZN9rocsparseL10abs_kernelILi256EfEEviiPKT0_lPS1_
		.amdhsa_group_segment_fixed_size 0
		.amdhsa_private_segment_fixed_size 0
		.amdhsa_kernarg_size 32
		.amdhsa_user_sgpr_count 6
		.amdhsa_user_sgpr_private_segment_buffer 1
		.amdhsa_user_sgpr_dispatch_ptr 0
		.amdhsa_user_sgpr_queue_ptr 0
		.amdhsa_user_sgpr_kernarg_segment_ptr 1
		.amdhsa_user_sgpr_dispatch_id 0
		.amdhsa_user_sgpr_flat_scratch_init 0
		.amdhsa_user_sgpr_private_segment_size 0
		.amdhsa_wavefront_size32 1
		.amdhsa_uses_dynamic_stack 0
		.amdhsa_system_sgpr_private_segment_wavefront_offset 0
		.amdhsa_system_sgpr_workgroup_id_x 1
		.amdhsa_system_sgpr_workgroup_id_y 0
		.amdhsa_system_sgpr_workgroup_id_z 0
		.amdhsa_system_sgpr_workgroup_info 0
		.amdhsa_system_vgpr_workitem_id 0
		.amdhsa_next_free_vgpr 7
		.amdhsa_next_free_sgpr 12
		.amdhsa_reserve_vcc 1
		.amdhsa_reserve_flat_scratch 0
		.amdhsa_float_round_mode_32 0
		.amdhsa_float_round_mode_16_64 0
		.amdhsa_float_denorm_mode_32 3
		.amdhsa_float_denorm_mode_16_64 3
		.amdhsa_dx10_clamp 1
		.amdhsa_ieee_mode 1
		.amdhsa_fp16_overflow 0
		.amdhsa_workgroup_processor_mode 1
		.amdhsa_memory_ordered 1
		.amdhsa_forward_progress 1
		.amdhsa_shared_vgpr_count 0
		.amdhsa_exception_fp_ieee_invalid_op 0
		.amdhsa_exception_fp_denorm_src 0
		.amdhsa_exception_fp_ieee_div_zero 0
		.amdhsa_exception_fp_ieee_overflow 0
		.amdhsa_exception_fp_ieee_underflow 0
		.amdhsa_exception_fp_ieee_inexact 0
		.amdhsa_exception_int_div_zero 0
	.end_amdhsa_kernel
	.section	.text._ZN9rocsparseL10abs_kernelILi256EfEEviiPKT0_lPS1_,"axG",@progbits,_ZN9rocsparseL10abs_kernelILi256EfEEviiPKT0_lPS1_,comdat
.Lfunc_end1:
	.size	_ZN9rocsparseL10abs_kernelILi256EfEEviiPKT0_lPS1_, .Lfunc_end1-_ZN9rocsparseL10abs_kernelILi256EfEEviiPKT0_lPS1_
                                        ; -- End function
	.set _ZN9rocsparseL10abs_kernelILi256EfEEviiPKT0_lPS1_.num_vgpr, 7
	.set _ZN9rocsparseL10abs_kernelILi256EfEEviiPKT0_lPS1_.num_agpr, 0
	.set _ZN9rocsparseL10abs_kernelILi256EfEEviiPKT0_lPS1_.numbered_sgpr, 12
	.set _ZN9rocsparseL10abs_kernelILi256EfEEviiPKT0_lPS1_.num_named_barrier, 0
	.set _ZN9rocsparseL10abs_kernelILi256EfEEviiPKT0_lPS1_.private_seg_size, 0
	.set _ZN9rocsparseL10abs_kernelILi256EfEEviiPKT0_lPS1_.uses_vcc, 1
	.set _ZN9rocsparseL10abs_kernelILi256EfEEviiPKT0_lPS1_.uses_flat_scratch, 0
	.set _ZN9rocsparseL10abs_kernelILi256EfEEviiPKT0_lPS1_.has_dyn_sized_stack, 0
	.set _ZN9rocsparseL10abs_kernelILi256EfEEviiPKT0_lPS1_.has_recursion, 0
	.set _ZN9rocsparseL10abs_kernelILi256EfEEviiPKT0_lPS1_.has_indirect_call, 0
	.section	.AMDGPU.csdata,"",@progbits
; Kernel info:
; codeLenInByte = 344
; TotalNumSgprs: 14
; NumVgprs: 7
; ScratchSize: 0
; MemoryBound: 0
; FloatMode: 240
; IeeeMode: 1
; LDSByteSize: 0 bytes/workgroup (compile time only)
; SGPRBlocks: 0
; VGPRBlocks: 0
; NumSGPRsForWavesPerEU: 14
; NumVGPRsForWavesPerEU: 7
; Occupancy: 16
; WaveLimiterHint : 0
; COMPUTE_PGM_RSRC2:SCRATCH_EN: 0
; COMPUTE_PGM_RSRC2:USER_SGPR: 6
; COMPUTE_PGM_RSRC2:TRAP_HANDLER: 0
; COMPUTE_PGM_RSRC2:TGID_X_EN: 1
; COMPUTE_PGM_RSRC2:TGID_Y_EN: 0
; COMPUTE_PGM_RSRC2:TGID_Z_EN: 0
; COMPUTE_PGM_RSRC2:TIDIG_COMP_CNT: 0
	.section	.text._ZN9rocsparseL27prune_dense2csr_nnz_kernel2ILi64ELi16EfEEviiPKT1_lS3_Pi,"axG",@progbits,_ZN9rocsparseL27prune_dense2csr_nnz_kernel2ILi64ELi16EfEEviiPKT1_lS3_Pi,comdat
	.globl	_ZN9rocsparseL27prune_dense2csr_nnz_kernel2ILi64ELi16EfEEviiPKT1_lS3_Pi ; -- Begin function _ZN9rocsparseL27prune_dense2csr_nnz_kernel2ILi64ELi16EfEEviiPKT1_lS3_Pi
	.p2align	8
	.type	_ZN9rocsparseL27prune_dense2csr_nnz_kernel2ILi64ELi16EfEEviiPKT1_lS3_Pi,@function
_ZN9rocsparseL27prune_dense2csr_nnz_kernel2ILi64ELi16EfEEviiPKT1_lS3_Pi: ; @_ZN9rocsparseL27prune_dense2csr_nnz_kernel2ILi64ELi16EfEEviiPKT1_lS3_Pi
; %bb.0:
	s_clause 0x2
	s_load_dword s0, s[4:5], 0x34
	s_load_dwordx8 s[8:15], s[4:5], 0x0
	s_load_dwordx2 s[16:17], s[4:5], 0x20
	s_lshl_b32 s5, s6, 8
	v_mov_b32_e32 v4, 0
	s_mov_b32 s19, 0
	s_mov_b32 s18, exec_lo
	v_mov_b32_e32 v7, v4
	v_mov_b32_e32 v8, v4
	;; [unrolled: 1-line block ×3, first 2 shown]
	s_waitcnt lgkmcnt(0)
	s_and_b32 s0, s0, 0xffff
	s_load_dword s14, s[14:15], 0x0
	v_mad_u32_u24 v3, v1, s0, v0
	s_ashr_i32 s0, s9, 31
	s_lshr_b32 s0, s0, 26
	s_add_i32 s15, s9, s0
	v_lshrrev_b32_e32 v0, 4, v3
	v_and_b32_e32 v5, 63, v3
	s_andn2_b32 s15, s15, 63
	v_and_b32_e32 v6, 0x7ffffc, v0
	v_or_b32_e32 v0, s5, v5
	v_or_b32_e32 v12, 64, v0
	;; [unrolled: 1-line block ×4, first 2 shown]
	v_cmpx_gt_i32_e64 s15, v6
	s_cbranch_execz .LBB2_12
; %bb.1:
	v_lshrrev_b32_e32 v9, 6, v3
	v_add_nc_u32_e32 v17, s5, v5
	v_cmp_gt_i32_e64 s0, s8, v12
	v_cmp_gt_i32_e64 s1, s8, v11
	;; [unrolled: 1-line block ×3, first 2 shown]
	v_lshlrev_b32_e32 v20, 2, v9
	v_mad_u64_u32 v[7:8], null, s12, v9, 0
	s_lshl_b64 s[6:7], s[12:13], 8
	v_cmp_gt_i32_e32 vcc_lo, s8, v0
	v_or_b32_e32 v21, 3, v20
	v_or_b32_e32 v18, 2, v20
	v_mad_u64_u32 v[13:14], null, s12, v20, s[12:13]
	v_mad_u64_u32 v[8:9], null, s13, v9, v[8:9]
	;; [unrolled: 1-line block ×4, first 2 shown]
	v_mov_b32_e32 v9, v14
	v_lshlrev_b64 v[7:8], 4, v[7:8]
	v_mov_b32_e32 v14, v16
	v_mad_u64_u32 v[18:19], null, s13, v18, v[2:3]
	v_mad_u64_u32 v[19:20], null, s13, v20, v[9:10]
	;; [unrolled: 1-line block ×3, first 2 shown]
	v_mov_b32_e32 v9, v4
	v_mov_b32_e32 v2, v18
	v_ashrrev_i32_e32 v18, 31, v17
	v_mov_b32_e32 v14, v19
	v_mov_b32_e32 v16, v20
	v_lshlrev_b64 v[19:20], 2, v[1:2]
	v_lshlrev_b64 v[1:2], 2, v[17:18]
	v_lshlrev_b64 v[21:22], 2, v[13:14]
	v_lshlrev_b64 v[15:16], 2, v[15:16]
	v_add_co_u32 v13, s3, s10, v19
	v_add_co_ci_u32_e64 v14, null, s11, v20, s3
	v_add_co_u32 v15, s3, s10, v15
	v_add_co_ci_u32_e64 v16, null, s11, v16, s3
	;; [unrolled: 2-line block ×4, first 2 shown]
	v_mov_b32_e32 v7, v4
	v_mov_b32_e32 v8, v4
	s_branch .LBB2_3
.LBB2_2:                                ;   in Loop: Header=BB2_3 Depth=1
	s_or_b32 exec_lo, exec_lo, s4
	v_add_co_u32 v13, s3, v13, s6
	v_add_nc_u32_e32 v6, 64, v6
	v_add_co_ci_u32_e64 v14, null, s7, v14, s3
	v_add_co_u32 v15, s3, v15, s6
	v_add_co_ci_u32_e64 v16, null, s7, v16, s3
	v_add_co_u32 v17, s3, v17, s6
	v_add_co_ci_u32_e64 v18, null, s7, v18, s3
	v_cmp_le_i32_e64 s3, s15, v6
	v_add_co_u32 v19, s4, v19, s6
	v_add_co_ci_u32_e64 v20, null, s7, v20, s4
	s_or_b32 s19, s3, s19
	s_andn2_b32 exec_lo, exec_lo, s19
	s_cbranch_execz .LBB2_11
.LBB2_3:                                ; =>This Inner Loop Header: Depth=1
	s_and_saveexec_b32 s4, vcc_lo
	s_cbranch_execnz .LBB2_7
; %bb.4:                                ;   in Loop: Header=BB2_3 Depth=1
	s_or_b32 exec_lo, exec_lo, s4
	s_and_saveexec_b32 s4, s0
	s_cbranch_execnz .LBB2_8
.LBB2_5:                                ;   in Loop: Header=BB2_3 Depth=1
	s_or_b32 exec_lo, exec_lo, s4
	s_and_saveexec_b32 s4, s1
	s_cbranch_execnz .LBB2_9
.LBB2_6:                                ;   in Loop: Header=BB2_3 Depth=1
	s_or_b32 exec_lo, exec_lo, s4
	s_and_saveexec_b32 s4, s2
	s_cbranch_execz .LBB2_2
	s_branch .LBB2_10
.LBB2_7:                                ;   in Loop: Header=BB2_3 Depth=1
	v_add_co_u32 v21, s3, v17, v1
	v_add_co_ci_u32_e64 v22, null, v18, v2, s3
	v_add_co_u32 v23, s3, v19, v1
	v_add_co_ci_u32_e64 v24, null, v20, v2, s3
	global_load_dword v25, v[21:22], off
	global_load_dword v26, v[23:24], off
	v_add_co_u32 v21, s3, v13, v1
	v_add_co_ci_u32_e64 v22, null, v14, v2, s3
	v_add_co_u32 v23, s3, v15, v1
	v_add_co_ci_u32_e64 v24, null, v16, v2, s3
	global_load_dword v21, v[21:22], off
	global_load_dword v22, v[23:24], off
	s_waitcnt vmcnt(3) lgkmcnt(0)
	v_cmp_gt_f32_e64 s3, |v25|, s14
	v_cndmask_b32_e64 v23, 0, 1, s3
	s_waitcnt vmcnt(2)
	v_cmp_gt_f32_e64 s3, |v26|, s14
	v_add_co_ci_u32_e64 v4, null, v4, v23, s3
	s_waitcnt vmcnt(1)
	v_cmp_gt_f32_e64 s3, |v21|, s14
	v_cndmask_b32_e64 v21, 0, 1, s3
	s_waitcnt vmcnt(0)
	v_cmp_gt_f32_e64 s3, |v22|, s14
	v_add_co_ci_u32_e64 v4, null, v4, v21, s3
	s_or_b32 exec_lo, exec_lo, s4
	s_and_saveexec_b32 s4, s0
	s_cbranch_execz .LBB2_5
.LBB2_8:                                ;   in Loop: Header=BB2_3 Depth=1
	v_add_co_u32 v21, s3, v17, v1
	v_add_co_ci_u32_e64 v22, null, v18, v2, s3
	v_add_co_u32 v23, s3, v19, v1
	v_add_co_ci_u32_e64 v24, null, v20, v2, s3
	global_load_dword v25, v[21:22], off offset:256
	global_load_dword v26, v[23:24], off offset:256
	v_add_co_u32 v21, s3, v13, v1
	v_add_co_ci_u32_e64 v22, null, v14, v2, s3
	v_add_co_u32 v23, s3, v15, v1
	v_add_co_ci_u32_e64 v24, null, v16, v2, s3
	global_load_dword v21, v[21:22], off offset:256
	global_load_dword v22, v[23:24], off offset:256
	s_waitcnt vmcnt(3) lgkmcnt(0)
	v_cmp_gt_f32_e64 s3, |v25|, s14
	v_cndmask_b32_e64 v23, 0, 1, s3
	s_waitcnt vmcnt(2)
	v_cmp_gt_f32_e64 s3, |v26|, s14
	v_add_co_ci_u32_e64 v7, null, v7, v23, s3
	s_waitcnt vmcnt(1)
	v_cmp_gt_f32_e64 s3, |v21|, s14
	v_cndmask_b32_e64 v21, 0, 1, s3
	s_waitcnt vmcnt(0)
	v_cmp_gt_f32_e64 s3, |v22|, s14
	v_add_co_ci_u32_e64 v7, null, v7, v21, s3
	s_or_b32 exec_lo, exec_lo, s4
	s_and_saveexec_b32 s4, s1
	s_cbranch_execz .LBB2_6
.LBB2_9:                                ;   in Loop: Header=BB2_3 Depth=1
	v_add_co_u32 v21, s3, v17, v1
	v_add_co_ci_u32_e64 v22, null, v18, v2, s3
	v_add_co_u32 v23, s3, v19, v1
	v_add_co_ci_u32_e64 v24, null, v20, v2, s3
	global_load_dword v25, v[21:22], off offset:512
	global_load_dword v26, v[23:24], off offset:512
	v_add_co_u32 v21, s3, v13, v1
	v_add_co_ci_u32_e64 v22, null, v14, v2, s3
	v_add_co_u32 v23, s3, v15, v1
	v_add_co_ci_u32_e64 v24, null, v16, v2, s3
	global_load_dword v21, v[21:22], off offset:512
	global_load_dword v22, v[23:24], off offset:512
	s_waitcnt vmcnt(3) lgkmcnt(0)
	v_cmp_gt_f32_e64 s3, |v25|, s14
	v_cndmask_b32_e64 v23, 0, 1, s3
	s_waitcnt vmcnt(2)
	v_cmp_gt_f32_e64 s3, |v26|, s14
	v_add_co_ci_u32_e64 v8, null, v8, v23, s3
	s_waitcnt vmcnt(1)
	v_cmp_gt_f32_e64 s3, |v21|, s14
	v_cndmask_b32_e64 v21, 0, 1, s3
	s_waitcnt vmcnt(0)
	v_cmp_gt_f32_e64 s3, |v22|, s14
	v_add_co_ci_u32_e64 v8, null, v8, v21, s3
	s_or_b32 exec_lo, exec_lo, s4
	s_and_saveexec_b32 s4, s2
	s_cbranch_execz .LBB2_2
.LBB2_10:                               ;   in Loop: Header=BB2_3 Depth=1
	v_add_co_u32 v21, s3, v17, v1
	v_add_co_ci_u32_e64 v22, null, v18, v2, s3
	v_add_co_u32 v23, s3, v19, v1
	v_add_co_ci_u32_e64 v24, null, v20, v2, s3
	global_load_dword v25, v[21:22], off offset:768
	global_load_dword v26, v[23:24], off offset:768
	v_add_co_u32 v21, s3, v13, v1
	v_add_co_ci_u32_e64 v22, null, v14, v2, s3
	v_add_co_u32 v23, s3, v15, v1
	v_add_co_ci_u32_e64 v24, null, v16, v2, s3
	global_load_dword v21, v[21:22], off offset:768
	global_load_dword v22, v[23:24], off offset:768
	s_waitcnt vmcnt(3) lgkmcnt(0)
	v_cmp_gt_f32_e64 s3, |v25|, s14
	v_cndmask_b32_e64 v23, 0, 1, s3
	s_waitcnt vmcnt(2)
	v_cmp_gt_f32_e64 s3, |v26|, s14
	v_add_co_ci_u32_e64 v9, null, v9, v23, s3
	s_waitcnt vmcnt(1)
	v_cmp_gt_f32_e64 s3, |v21|, s14
	v_cndmask_b32_e64 v21, 0, 1, s3
	s_waitcnt vmcnt(0)
	v_cmp_gt_f32_e64 s3, |v22|, s14
	v_add_co_ci_u32_e64 v9, null, v9, v21, s3
	s_branch .LBB2_2
.LBB2_11:
	s_or_b32 exec_lo, exec_lo, s19
.LBB2_12:
	s_or_b32 exec_lo, exec_lo, s18
	s_sub_i32 s0, s9, s15
	s_cmp_lt_i32 s0, 1
	s_cbranch_scc1 .LBB2_54
; %bb.13:
	v_ashrrev_i32_e32 v1, 31, v0
	s_mov_b32 s0, exec_lo
	v_cmpx_gt_i32_e64 s8, v0
	s_cbranch_execnz .LBB2_17
; %bb.14:
	s_or_b32 exec_lo, exec_lo, s0
	s_mov_b32 s0, exec_lo
	v_cmpx_gt_i32_e64 s8, v12
	s_cbranch_execnz .LBB2_26
.LBB2_15:
	s_or_b32 exec_lo, exec_lo, s0
	s_mov_b32 s0, exec_lo
	v_cmpx_gt_i32_e64 s8, v11
	s_cbranch_execnz .LBB2_35
.LBB2_16:
	s_or_b32 exec_lo, exec_lo, s0
	s_mov_b32 s0, exec_lo
	v_cmpx_gt_i32_e64 s8, v10
	s_cbranch_execnz .LBB2_44
	s_branch .LBB2_53
.LBB2_17:
	v_lshlrev_b64 v[13:14], 2, v[0:1]
	s_mov_b32 s1, exec_lo
	v_add_co_u32 v2, vcc_lo, s10, v13
	v_add_co_ci_u32_e64 v13, null, s11, v14, vcc_lo
	v_cmpx_gt_i32_e64 s9, v6
	s_cbranch_execz .LBB2_19
; %bb.18:
	v_mad_u64_u32 v[14:15], null, s12, v6, 0
	v_mad_u64_u32 v[15:16], null, s13, v6, v[15:16]
	v_lshlrev_b64 v[14:15], 2, v[14:15]
	v_add_co_u32 v14, vcc_lo, v2, v14
	v_add_co_ci_u32_e64 v15, null, v13, v15, vcc_lo
	global_load_dword v14, v[14:15], off
	s_waitcnt vmcnt(0) lgkmcnt(0)
	v_cmp_gt_f32_e64 vcc_lo, |v14|, s14
	v_add_co_ci_u32_e64 v4, null, 0, v4, vcc_lo
.LBB2_19:
	s_or_b32 exec_lo, exec_lo, s1
	v_or_b32_e32 v14, 1, v6
	s_mov_b32 s1, exec_lo
	v_cmpx_gt_i32_e64 s9, v14
	s_cbranch_execz .LBB2_21
; %bb.20:
	v_mad_u64_u32 v[15:16], null, s12, v14, 0
	v_mad_u64_u32 v[16:17], null, s13, v14, v[16:17]
	v_lshlrev_b64 v[14:15], 2, v[15:16]
	v_add_co_u32 v14, vcc_lo, v2, v14
	v_add_co_ci_u32_e64 v15, null, v13, v15, vcc_lo
	global_load_dword v14, v[14:15], off
	s_waitcnt vmcnt(0) lgkmcnt(0)
	v_cmp_gt_f32_e64 vcc_lo, |v14|, s14
	v_add_co_ci_u32_e64 v4, null, 0, v4, vcc_lo
.LBB2_21:
	s_or_b32 exec_lo, exec_lo, s1
	v_or_b32_e32 v14, 2, v6
	s_mov_b32 s1, exec_lo
	;; [unrolled: 16-line block ×3, first 2 shown]
	v_cmpx_gt_i32_e64 s9, v14
	s_cbranch_execz .LBB2_25
; %bb.24:
	v_mad_u64_u32 v[15:16], null, s12, v14, 0
	v_mad_u64_u32 v[16:17], null, s13, v14, v[16:17]
	v_lshlrev_b64 v[14:15], 2, v[15:16]
	v_add_co_u32 v14, vcc_lo, v2, v14
	v_add_co_ci_u32_e64 v15, null, v13, v15, vcc_lo
	global_load_dword v2, v[14:15], off
	s_waitcnt vmcnt(0) lgkmcnt(0)
	v_cmp_gt_f32_e64 vcc_lo, |v2|, s14
	v_add_co_ci_u32_e64 v4, null, 0, v4, vcc_lo
.LBB2_25:
	s_or_b32 exec_lo, exec_lo, s1
	s_or_b32 exec_lo, exec_lo, s0
	s_mov_b32 s0, exec_lo
	v_cmpx_gt_i32_e64 s8, v12
	s_cbranch_execz .LBB2_15
.LBB2_26:
	v_lshlrev_b64 v[12:13], 2, v[0:1]
	s_mov_b32 s1, exec_lo
	v_add_co_u32 v2, vcc_lo, s10, v12
	v_add_co_ci_u32_e64 v12, null, s11, v13, vcc_lo
	v_cmpx_gt_i32_e64 s9, v6
	s_cbranch_execz .LBB2_28
; %bb.27:
	v_mad_u64_u32 v[13:14], null, s12, v6, 0
	v_mad_u64_u32 v[14:15], null, s13, v6, v[14:15]
	v_lshlrev_b64 v[13:14], 2, v[13:14]
	v_add_co_u32 v13, vcc_lo, v2, v13
	v_add_co_ci_u32_e64 v14, null, v12, v14, vcc_lo
	global_load_dword v13, v[13:14], off offset:256
	s_waitcnt vmcnt(0) lgkmcnt(0)
	v_cmp_gt_f32_e64 vcc_lo, |v13|, s14
	v_add_co_ci_u32_e64 v7, null, 0, v7, vcc_lo
.LBB2_28:
	s_or_b32 exec_lo, exec_lo, s1
	v_or_b32_e32 v13, 1, v6
	s_mov_b32 s1, exec_lo
	v_cmpx_gt_i32_e64 s9, v13
	s_cbranch_execz .LBB2_30
; %bb.29:
	v_mad_u64_u32 v[14:15], null, s12, v13, 0
	v_mad_u64_u32 v[15:16], null, s13, v13, v[15:16]
	v_lshlrev_b64 v[13:14], 2, v[14:15]
	v_add_co_u32 v13, vcc_lo, v2, v13
	v_add_co_ci_u32_e64 v14, null, v12, v14, vcc_lo
	global_load_dword v13, v[13:14], off offset:256
	s_waitcnt vmcnt(0) lgkmcnt(0)
	v_cmp_gt_f32_e64 vcc_lo, |v13|, s14
	v_add_co_ci_u32_e64 v7, null, 0, v7, vcc_lo
.LBB2_30:
	s_or_b32 exec_lo, exec_lo, s1
	v_or_b32_e32 v13, 2, v6
	s_mov_b32 s1, exec_lo
	;; [unrolled: 16-line block ×3, first 2 shown]
	v_cmpx_gt_i32_e64 s9, v13
	s_cbranch_execz .LBB2_34
; %bb.33:
	v_mad_u64_u32 v[14:15], null, s12, v13, 0
	v_mad_u64_u32 v[15:16], null, s13, v13, v[15:16]
	v_lshlrev_b64 v[13:14], 2, v[14:15]
	v_add_co_u32 v13, vcc_lo, v2, v13
	v_add_co_ci_u32_e64 v14, null, v12, v14, vcc_lo
	global_load_dword v2, v[13:14], off offset:256
	s_waitcnt vmcnt(0) lgkmcnt(0)
	v_cmp_gt_f32_e64 vcc_lo, |v2|, s14
	v_add_co_ci_u32_e64 v7, null, 0, v7, vcc_lo
.LBB2_34:
	s_or_b32 exec_lo, exec_lo, s1
	s_or_b32 exec_lo, exec_lo, s0
	s_mov_b32 s0, exec_lo
	v_cmpx_gt_i32_e64 s8, v11
	s_cbranch_execz .LBB2_16
.LBB2_35:
	v_lshlrev_b64 v[11:12], 2, v[0:1]
	s_mov_b32 s1, exec_lo
	v_add_co_u32 v2, vcc_lo, s10, v11
	v_add_co_ci_u32_e64 v11, null, s11, v12, vcc_lo
	v_cmpx_gt_i32_e64 s9, v6
	s_cbranch_execz .LBB2_37
; %bb.36:
	v_mad_u64_u32 v[12:13], null, s12, v6, 0
	v_mad_u64_u32 v[13:14], null, s13, v6, v[13:14]
	v_lshlrev_b64 v[12:13], 2, v[12:13]
	v_add_co_u32 v12, vcc_lo, v2, v12
	v_add_co_ci_u32_e64 v13, null, v11, v13, vcc_lo
	global_load_dword v12, v[12:13], off offset:512
	s_waitcnt vmcnt(0) lgkmcnt(0)
	v_cmp_gt_f32_e64 vcc_lo, |v12|, s14
	v_add_co_ci_u32_e64 v8, null, 0, v8, vcc_lo
.LBB2_37:
	s_or_b32 exec_lo, exec_lo, s1
	v_or_b32_e32 v12, 1, v6
	s_mov_b32 s1, exec_lo
	v_cmpx_gt_i32_e64 s9, v12
	s_cbranch_execz .LBB2_39
; %bb.38:
	v_mad_u64_u32 v[13:14], null, s12, v12, 0
	v_mad_u64_u32 v[14:15], null, s13, v12, v[14:15]
	v_lshlrev_b64 v[12:13], 2, v[13:14]
	v_add_co_u32 v12, vcc_lo, v2, v12
	v_add_co_ci_u32_e64 v13, null, v11, v13, vcc_lo
	global_load_dword v12, v[12:13], off offset:512
	s_waitcnt vmcnt(0) lgkmcnt(0)
	v_cmp_gt_f32_e64 vcc_lo, |v12|, s14
	v_add_co_ci_u32_e64 v8, null, 0, v8, vcc_lo
.LBB2_39:
	s_or_b32 exec_lo, exec_lo, s1
	v_or_b32_e32 v12, 2, v6
	s_mov_b32 s1, exec_lo
	;; [unrolled: 16-line block ×3, first 2 shown]
	v_cmpx_gt_i32_e64 s9, v12
	s_cbranch_execz .LBB2_43
; %bb.42:
	v_mad_u64_u32 v[13:14], null, s12, v12, 0
	v_mad_u64_u32 v[14:15], null, s13, v12, v[14:15]
	v_lshlrev_b64 v[12:13], 2, v[13:14]
	v_add_co_u32 v12, vcc_lo, v2, v12
	v_add_co_ci_u32_e64 v13, null, v11, v13, vcc_lo
	global_load_dword v2, v[12:13], off offset:512
	s_waitcnt vmcnt(0) lgkmcnt(0)
	v_cmp_gt_f32_e64 vcc_lo, |v2|, s14
	v_add_co_ci_u32_e64 v8, null, 0, v8, vcc_lo
.LBB2_43:
	s_or_b32 exec_lo, exec_lo, s1
	s_or_b32 exec_lo, exec_lo, s0
	s_mov_b32 s0, exec_lo
	v_cmpx_gt_i32_e64 s8, v10
	s_cbranch_execz .LBB2_53
.LBB2_44:
	v_lshlrev_b64 v[0:1], 2, v[0:1]
	s_mov_b32 s1, exec_lo
	v_add_co_u32 v0, vcc_lo, s10, v0
	v_add_co_ci_u32_e64 v1, null, s11, v1, vcc_lo
	v_cmpx_gt_i32_e64 s9, v6
	s_cbranch_execz .LBB2_46
; %bb.45:
	v_mad_u64_u32 v[10:11], null, s12, v6, 0
	v_mov_b32_e32 v2, v11
	v_mad_u64_u32 v[11:12], null, s13, v6, v[2:3]
	v_lshlrev_b64 v[10:11], 2, v[10:11]
	v_add_co_u32 v10, vcc_lo, v0, v10
	v_add_co_ci_u32_e64 v11, null, v1, v11, vcc_lo
	global_load_dword v2, v[10:11], off offset:768
	s_waitcnt vmcnt(0) lgkmcnt(0)
	v_cmp_gt_f32_e64 vcc_lo, |v2|, s14
	v_add_co_ci_u32_e64 v9, null, 0, v9, vcc_lo
.LBB2_46:
	s_or_b32 exec_lo, exec_lo, s1
	v_or_b32_e32 v2, 1, v6
	s_mov_b32 s1, exec_lo
	v_cmpx_gt_i32_e64 s9, v2
	s_cbranch_execz .LBB2_48
; %bb.47:
	v_mad_u64_u32 v[10:11], null, s12, v2, 0
	v_mad_u64_u32 v[11:12], null, s13, v2, v[11:12]
	v_lshlrev_b64 v[10:11], 2, v[10:11]
	v_add_co_u32 v10, vcc_lo, v0, v10
	v_add_co_ci_u32_e64 v11, null, v1, v11, vcc_lo
	global_load_dword v2, v[10:11], off offset:768
	s_waitcnt vmcnt(0) lgkmcnt(0)
	v_cmp_gt_f32_e64 vcc_lo, |v2|, s14
	v_add_co_ci_u32_e64 v9, null, 0, v9, vcc_lo
.LBB2_48:
	s_or_b32 exec_lo, exec_lo, s1
	v_or_b32_e32 v2, 2, v6
	s_mov_b32 s1, exec_lo
	v_cmpx_gt_i32_e64 s9, v2
	s_cbranch_execz .LBB2_50
; %bb.49:
	v_mad_u64_u32 v[10:11], null, s12, v2, 0
	v_mad_u64_u32 v[11:12], null, s13, v2, v[11:12]
	v_lshlrev_b64 v[10:11], 2, v[10:11]
	v_add_co_u32 v10, vcc_lo, v0, v10
	v_add_co_ci_u32_e64 v11, null, v1, v11, vcc_lo
	global_load_dword v2, v[10:11], off offset:768
	s_waitcnt vmcnt(0) lgkmcnt(0)
	v_cmp_gt_f32_e64 vcc_lo, |v2|, s14
	v_add_co_ci_u32_e64 v9, null, 0, v9, vcc_lo
.LBB2_50:
	s_or_b32 exec_lo, exec_lo, s1
	v_or_b32_e32 v2, 3, v6
	s_mov_b32 s1, exec_lo
	v_cmpx_gt_i32_e64 s9, v2
	s_cbranch_execz .LBB2_52
; %bb.51:
	v_mad_u64_u32 v[10:11], null, s12, v2, 0
	v_mov_b32_e32 v6, v11
	v_mad_u64_u32 v[11:12], null, s13, v2, v[6:7]
	v_lshlrev_b64 v[10:11], 2, v[10:11]
	v_add_co_u32 v0, vcc_lo, v0, v10
	v_add_co_ci_u32_e64 v1, null, v1, v11, vcc_lo
	global_load_dword v0, v[0:1], off offset:768
	s_waitcnt vmcnt(0) lgkmcnt(0)
	v_cmp_gt_f32_e64 vcc_lo, |v0|, s14
	v_add_co_ci_u32_e64 v9, null, 0, v9, vcc_lo
.LBB2_52:
	s_or_b32 exec_lo, exec_lo, s1
.LBB2_53:
	s_or_b32 exec_lo, exec_lo, s0
.LBB2_54:
	v_lshlrev_b32_e32 v0, 4, v3
	v_lshlrev_b32_e32 v1, 2, v5
	s_mov_b32 s0, exec_lo
	v_and_or_b32 v0, 0x7ffffc00, v0, v1
	ds_write2st64_b32 v0, v4, v7 offset1:1
	ds_write2st64_b32 v0, v8, v9 offset0:2 offset1:3
	s_waitcnt lgkmcnt(0)
	s_barrier
	buffer_gl0_inv
	v_cmpx_gt_u32_e32 0x100, v3
	s_cbranch_execz .LBB2_57
; %bb.55:
	v_lshlrev_b32_e32 v10, 2, v3
	ds_read2st64_b32 v[0:1], v10 offset1:4
	ds_read2st64_b32 v[4:5], v10 offset0:8 offset1:12
	ds_read2st64_b32 v[6:7], v10 offset0:16 offset1:20
	;; [unrolled: 1-line block ×3, first 2 shown]
	s_waitcnt lgkmcnt(3)
	v_add_nc_u32_e32 v2, v1, v0
	ds_read2st64_b32 v[0:1], v10 offset0:32 offset1:36
	s_waitcnt lgkmcnt(3)
	v_add3_u32 v2, v2, v4, v5
	ds_read2st64_b32 v[4:5], v10 offset0:40 offset1:44
	s_waitcnt lgkmcnt(3)
	v_add3_u32 v2, v2, v6, v7
	;; [unrolled: 3-line block ×4, first 2 shown]
	s_waitcnt lgkmcnt(2)
	v_add3_u32 v0, v0, v4, v5
	s_waitcnt lgkmcnt(1)
	v_add3_u32 v1, v0, v6, v7
	v_or_b32_e32 v0, s5, v3
	s_waitcnt lgkmcnt(0)
	v_add3_u32 v2, v1, v8, v9
	v_cmp_gt_i32_e32 vcc_lo, s8, v0
	ds_write_b32 v10, v2
	s_and_b32 exec_lo, exec_lo, vcc_lo
	s_cbranch_execz .LBB2_57
; %bb.56:
	v_ashrrev_i32_e32 v1, 31, v0
	v_lshlrev_b64 v[0:1], 2, v[0:1]
	v_add_co_u32 v0, vcc_lo, s16, v0
	v_add_co_ci_u32_e64 v1, null, s17, v1, vcc_lo
	global_store_dword v[0:1], v2, off
.LBB2_57:
	s_endpgm
	.section	.rodata,"a",@progbits
	.p2align	6, 0x0
	.amdhsa_kernel _ZN9rocsparseL27prune_dense2csr_nnz_kernel2ILi64ELi16EfEEviiPKT1_lS3_Pi
		.amdhsa_group_segment_fixed_size 16384
		.amdhsa_private_segment_fixed_size 0
		.amdhsa_kernarg_size 296
		.amdhsa_user_sgpr_count 6
		.amdhsa_user_sgpr_private_segment_buffer 1
		.amdhsa_user_sgpr_dispatch_ptr 0
		.amdhsa_user_sgpr_queue_ptr 0
		.amdhsa_user_sgpr_kernarg_segment_ptr 1
		.amdhsa_user_sgpr_dispatch_id 0
		.amdhsa_user_sgpr_flat_scratch_init 0
		.amdhsa_user_sgpr_private_segment_size 0
		.amdhsa_wavefront_size32 1
		.amdhsa_uses_dynamic_stack 0
		.amdhsa_system_sgpr_private_segment_wavefront_offset 0
		.amdhsa_system_sgpr_workgroup_id_x 1
		.amdhsa_system_sgpr_workgroup_id_y 0
		.amdhsa_system_sgpr_workgroup_id_z 0
		.amdhsa_system_sgpr_workgroup_info 0
		.amdhsa_system_vgpr_workitem_id 1
		.amdhsa_next_free_vgpr 27
		.amdhsa_next_free_sgpr 20
		.amdhsa_reserve_vcc 1
		.amdhsa_reserve_flat_scratch 0
		.amdhsa_float_round_mode_32 0
		.amdhsa_float_round_mode_16_64 0
		.amdhsa_float_denorm_mode_32 3
		.amdhsa_float_denorm_mode_16_64 3
		.amdhsa_dx10_clamp 1
		.amdhsa_ieee_mode 1
		.amdhsa_fp16_overflow 0
		.amdhsa_workgroup_processor_mode 1
		.amdhsa_memory_ordered 1
		.amdhsa_forward_progress 1
		.amdhsa_shared_vgpr_count 0
		.amdhsa_exception_fp_ieee_invalid_op 0
		.amdhsa_exception_fp_denorm_src 0
		.amdhsa_exception_fp_ieee_div_zero 0
		.amdhsa_exception_fp_ieee_overflow 0
		.amdhsa_exception_fp_ieee_underflow 0
		.amdhsa_exception_fp_ieee_inexact 0
		.amdhsa_exception_int_div_zero 0
	.end_amdhsa_kernel
	.section	.text._ZN9rocsparseL27prune_dense2csr_nnz_kernel2ILi64ELi16EfEEviiPKT1_lS3_Pi,"axG",@progbits,_ZN9rocsparseL27prune_dense2csr_nnz_kernel2ILi64ELi16EfEEviiPKT1_lS3_Pi,comdat
.Lfunc_end2:
	.size	_ZN9rocsparseL27prune_dense2csr_nnz_kernel2ILi64ELi16EfEEviiPKT1_lS3_Pi, .Lfunc_end2-_ZN9rocsparseL27prune_dense2csr_nnz_kernel2ILi64ELi16EfEEviiPKT1_lS3_Pi
                                        ; -- End function
	.set _ZN9rocsparseL27prune_dense2csr_nnz_kernel2ILi64ELi16EfEEviiPKT1_lS3_Pi.num_vgpr, 27
	.set _ZN9rocsparseL27prune_dense2csr_nnz_kernel2ILi64ELi16EfEEviiPKT1_lS3_Pi.num_agpr, 0
	.set _ZN9rocsparseL27prune_dense2csr_nnz_kernel2ILi64ELi16EfEEviiPKT1_lS3_Pi.numbered_sgpr, 20
	.set _ZN9rocsparseL27prune_dense2csr_nnz_kernel2ILi64ELi16EfEEviiPKT1_lS3_Pi.num_named_barrier, 0
	.set _ZN9rocsparseL27prune_dense2csr_nnz_kernel2ILi64ELi16EfEEviiPKT1_lS3_Pi.private_seg_size, 0
	.set _ZN9rocsparseL27prune_dense2csr_nnz_kernel2ILi64ELi16EfEEviiPKT1_lS3_Pi.uses_vcc, 1
	.set _ZN9rocsparseL27prune_dense2csr_nnz_kernel2ILi64ELi16EfEEviiPKT1_lS3_Pi.uses_flat_scratch, 0
	.set _ZN9rocsparseL27prune_dense2csr_nnz_kernel2ILi64ELi16EfEEviiPKT1_lS3_Pi.has_dyn_sized_stack, 0
	.set _ZN9rocsparseL27prune_dense2csr_nnz_kernel2ILi64ELi16EfEEviiPKT1_lS3_Pi.has_recursion, 0
	.set _ZN9rocsparseL27prune_dense2csr_nnz_kernel2ILi64ELi16EfEEviiPKT1_lS3_Pi.has_indirect_call, 0
	.section	.AMDGPU.csdata,"",@progbits
; Kernel info:
; codeLenInByte = 3316
; TotalNumSgprs: 22
; NumVgprs: 27
; ScratchSize: 0
; MemoryBound: 0
; FloatMode: 240
; IeeeMode: 1
; LDSByteSize: 16384 bytes/workgroup (compile time only)
; SGPRBlocks: 0
; VGPRBlocks: 3
; NumSGPRsForWavesPerEU: 22
; NumVGPRsForWavesPerEU: 27
; Occupancy: 16
; WaveLimiterHint : 0
; COMPUTE_PGM_RSRC2:SCRATCH_EN: 0
; COMPUTE_PGM_RSRC2:USER_SGPR: 6
; COMPUTE_PGM_RSRC2:TRAP_HANDLER: 0
; COMPUTE_PGM_RSRC2:TGID_X_EN: 1
; COMPUTE_PGM_RSRC2:TGID_Y_EN: 0
; COMPUTE_PGM_RSRC2:TGID_Z_EN: 0
; COMPUTE_PGM_RSRC2:TIDIG_COMP_CNT: 1
	.section	.text._ZN9rocsparseL10abs_kernelILi256EdEEviiPKT0_lPS1_,"axG",@progbits,_ZN9rocsparseL10abs_kernelILi256EdEEviiPKT0_lPS1_,comdat
	.globl	_ZN9rocsparseL10abs_kernelILi256EdEEviiPKT0_lPS1_ ; -- Begin function _ZN9rocsparseL10abs_kernelILi256EdEEviiPKT0_lPS1_
	.p2align	8
	.type	_ZN9rocsparseL10abs_kernelILi256EdEEviiPKT0_lPS1_,@function
_ZN9rocsparseL10abs_kernelILi256EdEEviiPKT0_lPS1_: ; @_ZN9rocsparseL10abs_kernelILi256EdEEviiPKT0_lPS1_
; %bb.0:
	s_load_dwordx2 s[0:1], s[4:5], 0x0
	v_lshl_or_b32 v0, s6, 8, v0
	s_waitcnt lgkmcnt(0)
	s_mul_i32 s1, s1, s0
	v_cmp_gt_i32_e32 vcc_lo, s1, v0
	s_and_saveexec_b32 s1, vcc_lo
	s_cbranch_execz .LBB3_2
; %bb.1:
	s_abs_i32 s1, s0
	v_sub_nc_u32_e32 v3, 0, v0
	v_cvt_f32_u32_e32 v1, s1
	s_sub_i32 s2, 0, s1
	s_load_dwordx4 s[8:11], s[4:5], 0x8
	v_max_i32_e32 v3, v0, v3
	v_rcp_iflag_f32_e32 v1, v1
	v_mul_f32_e32 v1, 0x4f7ffffe, v1
	v_cvt_u32_f32_e32 v1, v1
	v_mul_lo_u32 v2, s2, v1
	s_load_dwordx2 s[2:3], s[4:5], 0x18
	v_mul_hi_u32 v2, v1, v2
	v_add_nc_u32_e32 v1, v1, v2
	v_mul_hi_u32 v1, v3, v1
	v_mul_lo_u32 v2, v1, s1
	v_sub_nc_u32_e32 v2, v3, v2
	v_add_nc_u32_e32 v3, 1, v1
	v_subrev_nc_u32_e32 v4, s1, v2
	v_cmp_le_u32_e32 vcc_lo, s1, v2
	v_cndmask_b32_e32 v1, v1, v3, vcc_lo
	v_cndmask_b32_e32 v2, v2, v4, vcc_lo
	v_xor_b32_e32 v3, s0, v0
	v_add_nc_u32_e32 v4, 1, v1
	v_cmp_le_u32_e32 vcc_lo, s1, v2
	v_ashrrev_i32_e32 v3, 31, v3
	v_cndmask_b32_e32 v1, v1, v4, vcc_lo
	v_xor_b32_e32 v1, v1, v3
	v_sub_nc_u32_e32 v1, v1, v3
	v_ashrrev_i32_e32 v3, 31, v1
	v_mul_lo_u32 v4, v1, s0
	s_waitcnt lgkmcnt(0)
	v_mul_lo_u32 v5, s11, v1
	v_mad_u64_u32 v[1:2], null, s10, v1, 0
	v_mul_lo_u32 v6, s10, v3
	v_sub_nc_u32_e32 v3, v0, v4
	v_add3_u32 v2, v2, v6, v5
	v_ashrrev_i32_e32 v4, 31, v3
	v_lshlrev_b64 v[1:2], 3, v[1:2]
	v_lshlrev_b64 v[3:4], 3, v[3:4]
	v_add_co_u32 v1, vcc_lo, s8, v1
	v_add_co_ci_u32_e64 v2, null, s9, v2, vcc_lo
	v_add_co_u32 v1, vcc_lo, v1, v3
	v_add_co_ci_u32_e64 v2, null, v2, v4, vcc_lo
	global_load_dwordx2 v[2:3], v[1:2], off
	v_ashrrev_i32_e32 v1, 31, v0
	v_lshlrev_b64 v[0:1], 3, v[0:1]
	s_waitcnt vmcnt(0)
	v_cmp_gt_f64_e32 vcc_lo, 0, v[2:3]
	v_xor_b32_e32 v4, 0x80000000, v3
	v_cndmask_b32_e32 v3, v3, v4, vcc_lo
	v_add_co_u32 v0, vcc_lo, s2, v0
	v_add_co_ci_u32_e64 v1, null, s3, v1, vcc_lo
	global_store_dwordx2 v[0:1], v[2:3], off
.LBB3_2:
	s_endpgm
	.section	.rodata,"a",@progbits
	.p2align	6, 0x0
	.amdhsa_kernel _ZN9rocsparseL10abs_kernelILi256EdEEviiPKT0_lPS1_
		.amdhsa_group_segment_fixed_size 0
		.amdhsa_private_segment_fixed_size 0
		.amdhsa_kernarg_size 32
		.amdhsa_user_sgpr_count 6
		.amdhsa_user_sgpr_private_segment_buffer 1
		.amdhsa_user_sgpr_dispatch_ptr 0
		.amdhsa_user_sgpr_queue_ptr 0
		.amdhsa_user_sgpr_kernarg_segment_ptr 1
		.amdhsa_user_sgpr_dispatch_id 0
		.amdhsa_user_sgpr_flat_scratch_init 0
		.amdhsa_user_sgpr_private_segment_size 0
		.amdhsa_wavefront_size32 1
		.amdhsa_uses_dynamic_stack 0
		.amdhsa_system_sgpr_private_segment_wavefront_offset 0
		.amdhsa_system_sgpr_workgroup_id_x 1
		.amdhsa_system_sgpr_workgroup_id_y 0
		.amdhsa_system_sgpr_workgroup_id_z 0
		.amdhsa_system_sgpr_workgroup_info 0
		.amdhsa_system_vgpr_workitem_id 0
		.amdhsa_next_free_vgpr 7
		.amdhsa_next_free_sgpr 12
		.amdhsa_reserve_vcc 1
		.amdhsa_reserve_flat_scratch 0
		.amdhsa_float_round_mode_32 0
		.amdhsa_float_round_mode_16_64 0
		.amdhsa_float_denorm_mode_32 3
		.amdhsa_float_denorm_mode_16_64 3
		.amdhsa_dx10_clamp 1
		.amdhsa_ieee_mode 1
		.amdhsa_fp16_overflow 0
		.amdhsa_workgroup_processor_mode 1
		.amdhsa_memory_ordered 1
		.amdhsa_forward_progress 1
		.amdhsa_shared_vgpr_count 0
		.amdhsa_exception_fp_ieee_invalid_op 0
		.amdhsa_exception_fp_denorm_src 0
		.amdhsa_exception_fp_ieee_div_zero 0
		.amdhsa_exception_fp_ieee_overflow 0
		.amdhsa_exception_fp_ieee_underflow 0
		.amdhsa_exception_fp_ieee_inexact 0
		.amdhsa_exception_int_div_zero 0
	.end_amdhsa_kernel
	.section	.text._ZN9rocsparseL10abs_kernelILi256EdEEviiPKT0_lPS1_,"axG",@progbits,_ZN9rocsparseL10abs_kernelILi256EdEEviiPKT0_lPS1_,comdat
.Lfunc_end3:
	.size	_ZN9rocsparseL10abs_kernelILi256EdEEviiPKT0_lPS1_, .Lfunc_end3-_ZN9rocsparseL10abs_kernelILi256EdEEviiPKT0_lPS1_
                                        ; -- End function
	.set _ZN9rocsparseL10abs_kernelILi256EdEEviiPKT0_lPS1_.num_vgpr, 7
	.set _ZN9rocsparseL10abs_kernelILi256EdEEviiPKT0_lPS1_.num_agpr, 0
	.set _ZN9rocsparseL10abs_kernelILi256EdEEviiPKT0_lPS1_.numbered_sgpr, 12
	.set _ZN9rocsparseL10abs_kernelILi256EdEEviiPKT0_lPS1_.num_named_barrier, 0
	.set _ZN9rocsparseL10abs_kernelILi256EdEEviiPKT0_lPS1_.private_seg_size, 0
	.set _ZN9rocsparseL10abs_kernelILi256EdEEviiPKT0_lPS1_.uses_vcc, 1
	.set _ZN9rocsparseL10abs_kernelILi256EdEEviiPKT0_lPS1_.uses_flat_scratch, 0
	.set _ZN9rocsparseL10abs_kernelILi256EdEEviiPKT0_lPS1_.has_dyn_sized_stack, 0
	.set _ZN9rocsparseL10abs_kernelILi256EdEEviiPKT0_lPS1_.has_recursion, 0
	.set _ZN9rocsparseL10abs_kernelILi256EdEEviiPKT0_lPS1_.has_indirect_call, 0
	.section	.AMDGPU.csdata,"",@progbits
; Kernel info:
; codeLenInByte = 348
; TotalNumSgprs: 14
; NumVgprs: 7
; ScratchSize: 0
; MemoryBound: 0
; FloatMode: 240
; IeeeMode: 1
; LDSByteSize: 0 bytes/workgroup (compile time only)
; SGPRBlocks: 0
; VGPRBlocks: 0
; NumSGPRsForWavesPerEU: 14
; NumVGPRsForWavesPerEU: 7
; Occupancy: 16
; WaveLimiterHint : 0
; COMPUTE_PGM_RSRC2:SCRATCH_EN: 0
; COMPUTE_PGM_RSRC2:USER_SGPR: 6
; COMPUTE_PGM_RSRC2:TRAP_HANDLER: 0
; COMPUTE_PGM_RSRC2:TGID_X_EN: 1
; COMPUTE_PGM_RSRC2:TGID_Y_EN: 0
; COMPUTE_PGM_RSRC2:TGID_Z_EN: 0
; COMPUTE_PGM_RSRC2:TIDIG_COMP_CNT: 0
	.section	.text._ZN9rocsparseL27prune_dense2csr_nnz_kernel2ILi64ELi16EdEEviiPKT1_lS3_Pi,"axG",@progbits,_ZN9rocsparseL27prune_dense2csr_nnz_kernel2ILi64ELi16EdEEviiPKT1_lS3_Pi,comdat
	.globl	_ZN9rocsparseL27prune_dense2csr_nnz_kernel2ILi64ELi16EdEEviiPKT1_lS3_Pi ; -- Begin function _ZN9rocsparseL27prune_dense2csr_nnz_kernel2ILi64ELi16EdEEviiPKT1_lS3_Pi
	.p2align	8
	.type	_ZN9rocsparseL27prune_dense2csr_nnz_kernel2ILi64ELi16EdEEviiPKT1_lS3_Pi,@function
_ZN9rocsparseL27prune_dense2csr_nnz_kernel2ILi64ELi16EdEEviiPKT1_lS3_Pi: ; @_ZN9rocsparseL27prune_dense2csr_nnz_kernel2ILi64ELi16EdEEviiPKT1_lS3_Pi
; %bb.0:
	s_clause 0x2
	s_load_dword s0, s[4:5], 0x34
	s_load_dwordx8 s[8:15], s[4:5], 0x0
	s_load_dwordx2 s[16:17], s[4:5], 0x20
	s_lshl_b32 s5, s6, 8
	v_mov_b32_e32 v4, 0
	s_mov_b32 s20, 0
	s_mov_b32 s19, exec_lo
	v_mov_b32_e32 v7, v4
	v_mov_b32_e32 v8, v4
	v_mov_b32_e32 v9, v4
	s_waitcnt lgkmcnt(0)
	s_and_b32 s0, s0, 0xffff
	s_load_dwordx2 s[6:7], s[14:15], 0x0
	v_mad_u32_u24 v3, v1, s0, v0
	s_ashr_i32 s0, s9, 31
	s_lshr_b32 s0, s0, 26
	s_add_i32 s18, s9, s0
	v_lshrrev_b32_e32 v0, 4, v3
	v_and_b32_e32 v5, 63, v3
	s_andn2_b32 s18, s18, 63
	v_and_b32_e32 v6, 0x7ffffc, v0
	v_or_b32_e32 v0, s5, v5
	v_or_b32_e32 v12, 64, v0
	;; [unrolled: 1-line block ×4, first 2 shown]
	v_cmpx_gt_i32_e64 s18, v6
	s_cbranch_execz .LBB4_12
; %bb.1:
	v_lshrrev_b32_e32 v9, 6, v3
	v_add_nc_u32_e32 v17, s5, v5
	v_cmp_gt_i32_e64 s0, s8, v12
	v_cmp_gt_i32_e64 s1, s8, v11
	;; [unrolled: 1-line block ×3, first 2 shown]
	v_lshlrev_b32_e32 v20, 2, v9
	v_mad_u64_u32 v[7:8], null, s12, v9, 0
	s_lshl_b64 s[14:15], s[12:13], 9
	v_cmp_gt_i32_e32 vcc_lo, s8, v0
	v_or_b32_e32 v21, 3, v20
	v_or_b32_e32 v18, 2, v20
	v_mad_u64_u32 v[13:14], null, s12, v20, s[12:13]
	v_mad_u64_u32 v[8:9], null, s13, v9, v[8:9]
	;; [unrolled: 1-line block ×4, first 2 shown]
	v_mov_b32_e32 v9, v14
	v_lshlrev_b64 v[7:8], 5, v[7:8]
	v_mov_b32_e32 v14, v16
	v_mad_u64_u32 v[18:19], null, s13, v18, v[2:3]
	v_mad_u64_u32 v[19:20], null, s13, v20, v[9:10]
	;; [unrolled: 1-line block ×3, first 2 shown]
	v_mov_b32_e32 v9, v4
	v_mov_b32_e32 v2, v18
	v_ashrrev_i32_e32 v18, 31, v17
	v_mov_b32_e32 v14, v19
	v_mov_b32_e32 v16, v20
	v_lshlrev_b64 v[19:20], 3, v[1:2]
	v_lshlrev_b64 v[1:2], 3, v[17:18]
	;; [unrolled: 1-line block ×4, first 2 shown]
	v_add_co_u32 v13, s3, s10, v19
	v_add_co_ci_u32_e64 v14, null, s11, v20, s3
	v_add_co_u32 v15, s3, s10, v15
	v_add_co_ci_u32_e64 v16, null, s11, v16, s3
	;; [unrolled: 2-line block ×4, first 2 shown]
	v_mov_b32_e32 v7, v4
	v_mov_b32_e32 v8, v4
	s_branch .LBB4_3
.LBB4_2:                                ;   in Loop: Header=BB4_3 Depth=1
	s_or_b32 exec_lo, exec_lo, s4
	v_add_co_u32 v13, s3, v13, s14
	v_add_nc_u32_e32 v6, 64, v6
	v_add_co_ci_u32_e64 v14, null, s15, v14, s3
	v_add_co_u32 v15, s3, v15, s14
	v_add_co_ci_u32_e64 v16, null, s15, v16, s3
	v_add_co_u32 v17, s3, v17, s14
	v_add_co_ci_u32_e64 v18, null, s15, v18, s3
	v_cmp_le_i32_e64 s3, s18, v6
	v_add_co_u32 v19, s4, v19, s14
	v_add_co_ci_u32_e64 v20, null, s15, v20, s4
	s_or_b32 s20, s3, s20
	s_andn2_b32 exec_lo, exec_lo, s20
	s_cbranch_execz .LBB4_11
.LBB4_3:                                ; =>This Inner Loop Header: Depth=1
	s_and_saveexec_b32 s4, vcc_lo
	s_cbranch_execnz .LBB4_7
; %bb.4:                                ;   in Loop: Header=BB4_3 Depth=1
	s_or_b32 exec_lo, exec_lo, s4
	s_and_saveexec_b32 s4, s0
	s_cbranch_execnz .LBB4_8
.LBB4_5:                                ;   in Loop: Header=BB4_3 Depth=1
	s_or_b32 exec_lo, exec_lo, s4
	s_and_saveexec_b32 s4, s1
	s_cbranch_execnz .LBB4_9
.LBB4_6:                                ;   in Loop: Header=BB4_3 Depth=1
	s_or_b32 exec_lo, exec_lo, s4
	s_and_saveexec_b32 s4, s2
	s_cbranch_execz .LBB4_2
	s_branch .LBB4_10
.LBB4_7:                                ;   in Loop: Header=BB4_3 Depth=1
	v_add_co_u32 v21, s3, v17, v1
	v_add_co_ci_u32_e64 v22, null, v18, v2, s3
	v_add_co_u32 v23, s3, v19, v1
	v_add_co_ci_u32_e64 v24, null, v20, v2, s3
	global_load_dwordx2 v[21:22], v[21:22], off
	global_load_dwordx2 v[23:24], v[23:24], off
	v_add_co_u32 v25, s3, v13, v1
	v_add_co_ci_u32_e64 v26, null, v14, v2, s3
	v_add_co_u32 v27, s3, v15, v1
	v_add_co_ci_u32_e64 v28, null, v16, v2, s3
	global_load_dwordx2 v[25:26], v[25:26], off
	global_load_dwordx2 v[27:28], v[27:28], off
	s_waitcnt vmcnt(3) lgkmcnt(0)
	v_cmp_gt_f64_e64 s3, |v[21:22]|, s[6:7]
	v_cndmask_b32_e64 v21, 0, 1, s3
	s_waitcnt vmcnt(2)
	v_cmp_gt_f64_e64 s3, |v[23:24]|, s[6:7]
	v_add_co_ci_u32_e64 v4, null, v4, v21, s3
	s_waitcnt vmcnt(1)
	v_cmp_gt_f64_e64 s3, |v[25:26]|, s[6:7]
	v_cndmask_b32_e64 v21, 0, 1, s3
	s_waitcnt vmcnt(0)
	v_cmp_gt_f64_e64 s3, |v[27:28]|, s[6:7]
	v_add_co_ci_u32_e64 v4, null, v4, v21, s3
	s_or_b32 exec_lo, exec_lo, s4
	s_and_saveexec_b32 s4, s0
	s_cbranch_execz .LBB4_5
.LBB4_8:                                ;   in Loop: Header=BB4_3 Depth=1
	v_add_co_u32 v21, s3, v17, v1
	v_add_co_ci_u32_e64 v22, null, v18, v2, s3
	v_add_co_u32 v23, s3, v19, v1
	v_add_co_ci_u32_e64 v24, null, v20, v2, s3
	global_load_dwordx2 v[21:22], v[21:22], off offset:512
	global_load_dwordx2 v[23:24], v[23:24], off offset:512
	v_add_co_u32 v25, s3, v13, v1
	v_add_co_ci_u32_e64 v26, null, v14, v2, s3
	v_add_co_u32 v27, s3, v15, v1
	v_add_co_ci_u32_e64 v28, null, v16, v2, s3
	global_load_dwordx2 v[25:26], v[25:26], off offset:512
	global_load_dwordx2 v[27:28], v[27:28], off offset:512
	s_waitcnt vmcnt(3) lgkmcnt(0)
	v_cmp_gt_f64_e64 s3, |v[21:22]|, s[6:7]
	v_cndmask_b32_e64 v21, 0, 1, s3
	s_waitcnt vmcnt(2)
	v_cmp_gt_f64_e64 s3, |v[23:24]|, s[6:7]
	v_add_co_ci_u32_e64 v7, null, v7, v21, s3
	s_waitcnt vmcnt(1)
	v_cmp_gt_f64_e64 s3, |v[25:26]|, s[6:7]
	v_cndmask_b32_e64 v21, 0, 1, s3
	s_waitcnt vmcnt(0)
	v_cmp_gt_f64_e64 s3, |v[27:28]|, s[6:7]
	v_add_co_ci_u32_e64 v7, null, v7, v21, s3
	s_or_b32 exec_lo, exec_lo, s4
	s_and_saveexec_b32 s4, s1
	s_cbranch_execz .LBB4_6
.LBB4_9:                                ;   in Loop: Header=BB4_3 Depth=1
	v_add_co_u32 v21, s3, v17, v1
	v_add_co_ci_u32_e64 v22, null, v18, v2, s3
	v_add_co_u32 v23, s3, v19, v1
	v_add_co_ci_u32_e64 v24, null, v20, v2, s3
	global_load_dwordx2 v[21:22], v[21:22], off offset:1024
	global_load_dwordx2 v[23:24], v[23:24], off offset:1024
	v_add_co_u32 v25, s3, v13, v1
	v_add_co_ci_u32_e64 v26, null, v14, v2, s3
	v_add_co_u32 v27, s3, v15, v1
	v_add_co_ci_u32_e64 v28, null, v16, v2, s3
	global_load_dwordx2 v[25:26], v[25:26], off offset:1024
	global_load_dwordx2 v[27:28], v[27:28], off offset:1024
	s_waitcnt vmcnt(3) lgkmcnt(0)
	v_cmp_gt_f64_e64 s3, |v[21:22]|, s[6:7]
	v_cndmask_b32_e64 v21, 0, 1, s3
	s_waitcnt vmcnt(2)
	v_cmp_gt_f64_e64 s3, |v[23:24]|, s[6:7]
	v_add_co_ci_u32_e64 v8, null, v8, v21, s3
	s_waitcnt vmcnt(1)
	v_cmp_gt_f64_e64 s3, |v[25:26]|, s[6:7]
	v_cndmask_b32_e64 v21, 0, 1, s3
	s_waitcnt vmcnt(0)
	v_cmp_gt_f64_e64 s3, |v[27:28]|, s[6:7]
	v_add_co_ci_u32_e64 v8, null, v8, v21, s3
	s_or_b32 exec_lo, exec_lo, s4
	s_and_saveexec_b32 s4, s2
	s_cbranch_execz .LBB4_2
.LBB4_10:                               ;   in Loop: Header=BB4_3 Depth=1
	v_add_co_u32 v21, s3, v17, v1
	v_add_co_ci_u32_e64 v22, null, v18, v2, s3
	v_add_co_u32 v23, s3, v19, v1
	v_add_co_ci_u32_e64 v24, null, v20, v2, s3
	global_load_dwordx2 v[21:22], v[21:22], off offset:1536
	global_load_dwordx2 v[23:24], v[23:24], off offset:1536
	v_add_co_u32 v25, s3, v13, v1
	v_add_co_ci_u32_e64 v26, null, v14, v2, s3
	v_add_co_u32 v27, s3, v15, v1
	v_add_co_ci_u32_e64 v28, null, v16, v2, s3
	global_load_dwordx2 v[25:26], v[25:26], off offset:1536
	global_load_dwordx2 v[27:28], v[27:28], off offset:1536
	s_waitcnt vmcnt(3) lgkmcnt(0)
	v_cmp_gt_f64_e64 s3, |v[21:22]|, s[6:7]
	v_cndmask_b32_e64 v21, 0, 1, s3
	s_waitcnt vmcnt(2)
	v_cmp_gt_f64_e64 s3, |v[23:24]|, s[6:7]
	v_add_co_ci_u32_e64 v9, null, v9, v21, s3
	s_waitcnt vmcnt(1)
	v_cmp_gt_f64_e64 s3, |v[25:26]|, s[6:7]
	v_cndmask_b32_e64 v21, 0, 1, s3
	s_waitcnt vmcnt(0)
	v_cmp_gt_f64_e64 s3, |v[27:28]|, s[6:7]
	v_add_co_ci_u32_e64 v9, null, v9, v21, s3
	s_branch .LBB4_2
.LBB4_11:
	s_or_b32 exec_lo, exec_lo, s20
.LBB4_12:
	s_or_b32 exec_lo, exec_lo, s19
	s_sub_i32 s0, s9, s18
	s_cmp_lt_i32 s0, 1
	s_cbranch_scc1 .LBB4_54
; %bb.13:
	v_ashrrev_i32_e32 v1, 31, v0
	s_mov_b32 s0, exec_lo
	v_cmpx_gt_i32_e64 s8, v0
	s_cbranch_execnz .LBB4_17
; %bb.14:
	s_or_b32 exec_lo, exec_lo, s0
	s_mov_b32 s0, exec_lo
	v_cmpx_gt_i32_e64 s8, v12
	s_cbranch_execnz .LBB4_26
.LBB4_15:
	s_or_b32 exec_lo, exec_lo, s0
	s_mov_b32 s0, exec_lo
	v_cmpx_gt_i32_e64 s8, v11
	s_cbranch_execnz .LBB4_35
.LBB4_16:
	s_or_b32 exec_lo, exec_lo, s0
	s_mov_b32 s0, exec_lo
	v_cmpx_gt_i32_e64 s8, v10
	s_cbranch_execnz .LBB4_44
	s_branch .LBB4_53
.LBB4_17:
	v_lshlrev_b64 v[13:14], 3, v[0:1]
	s_mov_b32 s1, exec_lo
	v_add_co_u32 v2, vcc_lo, s10, v13
	v_add_co_ci_u32_e64 v13, null, s11, v14, vcc_lo
	v_cmpx_gt_i32_e64 s9, v6
	s_cbranch_execz .LBB4_19
; %bb.18:
	v_mad_u64_u32 v[14:15], null, s12, v6, 0
	v_mad_u64_u32 v[15:16], null, s13, v6, v[15:16]
	v_lshlrev_b64 v[14:15], 3, v[14:15]
	v_add_co_u32 v14, vcc_lo, v2, v14
	v_add_co_ci_u32_e64 v15, null, v13, v15, vcc_lo
	global_load_dwordx2 v[14:15], v[14:15], off
	s_waitcnt vmcnt(0) lgkmcnt(0)
	v_cmp_gt_f64_e64 vcc_lo, |v[14:15]|, s[6:7]
	v_add_co_ci_u32_e64 v4, null, 0, v4, vcc_lo
.LBB4_19:
	s_or_b32 exec_lo, exec_lo, s1
	v_or_b32_e32 v14, 1, v6
	s_mov_b32 s1, exec_lo
	v_cmpx_gt_i32_e64 s9, v14
	s_cbranch_execz .LBB4_21
; %bb.20:
	v_mad_u64_u32 v[15:16], null, s12, v14, 0
	v_mad_u64_u32 v[16:17], null, s13, v14, v[16:17]
	v_lshlrev_b64 v[14:15], 3, v[15:16]
	v_add_co_u32 v14, vcc_lo, v2, v14
	v_add_co_ci_u32_e64 v15, null, v13, v15, vcc_lo
	global_load_dwordx2 v[14:15], v[14:15], off
	s_waitcnt vmcnt(0) lgkmcnt(0)
	v_cmp_gt_f64_e64 vcc_lo, |v[14:15]|, s[6:7]
	v_add_co_ci_u32_e64 v4, null, 0, v4, vcc_lo
.LBB4_21:
	s_or_b32 exec_lo, exec_lo, s1
	v_or_b32_e32 v14, 2, v6
	s_mov_b32 s1, exec_lo
	;; [unrolled: 16-line block ×3, first 2 shown]
	v_cmpx_gt_i32_e64 s9, v14
	s_cbranch_execz .LBB4_25
; %bb.24:
	v_mad_u64_u32 v[15:16], null, s12, v14, 0
	v_mad_u64_u32 v[16:17], null, s13, v14, v[16:17]
	v_lshlrev_b64 v[14:15], 3, v[15:16]
	v_add_co_u32 v14, vcc_lo, v2, v14
	v_add_co_ci_u32_e64 v15, null, v13, v15, vcc_lo
	global_load_dwordx2 v[13:14], v[14:15], off
	s_waitcnt vmcnt(0) lgkmcnt(0)
	v_cmp_gt_f64_e64 vcc_lo, |v[13:14]|, s[6:7]
	v_add_co_ci_u32_e64 v4, null, 0, v4, vcc_lo
.LBB4_25:
	s_or_b32 exec_lo, exec_lo, s1
	s_or_b32 exec_lo, exec_lo, s0
	s_mov_b32 s0, exec_lo
	v_cmpx_gt_i32_e64 s8, v12
	s_cbranch_execz .LBB4_15
.LBB4_26:
	v_lshlrev_b64 v[12:13], 3, v[0:1]
	s_mov_b32 s1, exec_lo
	v_add_co_u32 v2, vcc_lo, s10, v12
	v_add_co_ci_u32_e64 v12, null, s11, v13, vcc_lo
	v_cmpx_gt_i32_e64 s9, v6
	s_cbranch_execz .LBB4_28
; %bb.27:
	v_mad_u64_u32 v[13:14], null, s12, v6, 0
	v_mad_u64_u32 v[14:15], null, s13, v6, v[14:15]
	v_lshlrev_b64 v[13:14], 3, v[13:14]
	v_add_co_u32 v13, vcc_lo, v2, v13
	v_add_co_ci_u32_e64 v14, null, v12, v14, vcc_lo
	global_load_dwordx2 v[13:14], v[13:14], off offset:512
	s_waitcnt vmcnt(0) lgkmcnt(0)
	v_cmp_gt_f64_e64 vcc_lo, |v[13:14]|, s[6:7]
	v_add_co_ci_u32_e64 v7, null, 0, v7, vcc_lo
.LBB4_28:
	s_or_b32 exec_lo, exec_lo, s1
	v_or_b32_e32 v13, 1, v6
	s_mov_b32 s1, exec_lo
	v_cmpx_gt_i32_e64 s9, v13
	s_cbranch_execz .LBB4_30
; %bb.29:
	v_mad_u64_u32 v[14:15], null, s12, v13, 0
	v_mad_u64_u32 v[15:16], null, s13, v13, v[15:16]
	v_lshlrev_b64 v[13:14], 3, v[14:15]
	v_add_co_u32 v13, vcc_lo, v2, v13
	v_add_co_ci_u32_e64 v14, null, v12, v14, vcc_lo
	global_load_dwordx2 v[13:14], v[13:14], off offset:512
	s_waitcnt vmcnt(0) lgkmcnt(0)
	v_cmp_gt_f64_e64 vcc_lo, |v[13:14]|, s[6:7]
	v_add_co_ci_u32_e64 v7, null, 0, v7, vcc_lo
.LBB4_30:
	s_or_b32 exec_lo, exec_lo, s1
	v_or_b32_e32 v13, 2, v6
	s_mov_b32 s1, exec_lo
	;; [unrolled: 16-line block ×3, first 2 shown]
	v_cmpx_gt_i32_e64 s9, v13
	s_cbranch_execz .LBB4_34
; %bb.33:
	v_mad_u64_u32 v[14:15], null, s12, v13, 0
	v_mad_u64_u32 v[15:16], null, s13, v13, v[15:16]
	v_lshlrev_b64 v[13:14], 3, v[14:15]
	v_add_co_u32 v13, vcc_lo, v2, v13
	v_add_co_ci_u32_e64 v14, null, v12, v14, vcc_lo
	global_load_dwordx2 v[12:13], v[13:14], off offset:512
	s_waitcnt vmcnt(0) lgkmcnt(0)
	v_cmp_gt_f64_e64 vcc_lo, |v[12:13]|, s[6:7]
	v_add_co_ci_u32_e64 v7, null, 0, v7, vcc_lo
.LBB4_34:
	s_or_b32 exec_lo, exec_lo, s1
	s_or_b32 exec_lo, exec_lo, s0
	s_mov_b32 s0, exec_lo
	v_cmpx_gt_i32_e64 s8, v11
	s_cbranch_execz .LBB4_16
.LBB4_35:
	v_lshlrev_b64 v[11:12], 3, v[0:1]
	s_mov_b32 s1, exec_lo
	v_add_co_u32 v2, vcc_lo, s10, v11
	v_add_co_ci_u32_e64 v11, null, s11, v12, vcc_lo
	v_cmpx_gt_i32_e64 s9, v6
	s_cbranch_execz .LBB4_37
; %bb.36:
	v_mad_u64_u32 v[12:13], null, s12, v6, 0
	v_mad_u64_u32 v[13:14], null, s13, v6, v[13:14]
	v_lshlrev_b64 v[12:13], 3, v[12:13]
	v_add_co_u32 v12, vcc_lo, v2, v12
	v_add_co_ci_u32_e64 v13, null, v11, v13, vcc_lo
	global_load_dwordx2 v[12:13], v[12:13], off offset:1024
	s_waitcnt vmcnt(0) lgkmcnt(0)
	v_cmp_gt_f64_e64 vcc_lo, |v[12:13]|, s[6:7]
	v_add_co_ci_u32_e64 v8, null, 0, v8, vcc_lo
.LBB4_37:
	s_or_b32 exec_lo, exec_lo, s1
	v_or_b32_e32 v12, 1, v6
	s_mov_b32 s1, exec_lo
	v_cmpx_gt_i32_e64 s9, v12
	s_cbranch_execz .LBB4_39
; %bb.38:
	v_mad_u64_u32 v[13:14], null, s12, v12, 0
	v_mad_u64_u32 v[14:15], null, s13, v12, v[14:15]
	v_lshlrev_b64 v[12:13], 3, v[13:14]
	v_add_co_u32 v12, vcc_lo, v2, v12
	v_add_co_ci_u32_e64 v13, null, v11, v13, vcc_lo
	global_load_dwordx2 v[12:13], v[12:13], off offset:1024
	s_waitcnt vmcnt(0) lgkmcnt(0)
	v_cmp_gt_f64_e64 vcc_lo, |v[12:13]|, s[6:7]
	v_add_co_ci_u32_e64 v8, null, 0, v8, vcc_lo
.LBB4_39:
	s_or_b32 exec_lo, exec_lo, s1
	v_or_b32_e32 v12, 2, v6
	s_mov_b32 s1, exec_lo
	;; [unrolled: 16-line block ×3, first 2 shown]
	v_cmpx_gt_i32_e64 s9, v12
	s_cbranch_execz .LBB4_43
; %bb.42:
	v_mad_u64_u32 v[13:14], null, s12, v12, 0
	v_mad_u64_u32 v[14:15], null, s13, v12, v[14:15]
	v_lshlrev_b64 v[12:13], 3, v[13:14]
	v_add_co_u32 v12, vcc_lo, v2, v12
	v_add_co_ci_u32_e64 v13, null, v11, v13, vcc_lo
	global_load_dwordx2 v[11:12], v[12:13], off offset:1024
	s_waitcnt vmcnt(0) lgkmcnt(0)
	v_cmp_gt_f64_e64 vcc_lo, |v[11:12]|, s[6:7]
	v_add_co_ci_u32_e64 v8, null, 0, v8, vcc_lo
.LBB4_43:
	s_or_b32 exec_lo, exec_lo, s1
	s_or_b32 exec_lo, exec_lo, s0
	s_mov_b32 s0, exec_lo
	v_cmpx_gt_i32_e64 s8, v10
	s_cbranch_execz .LBB4_53
.LBB4_44:
	v_lshlrev_b64 v[0:1], 3, v[0:1]
	s_mov_b32 s1, exec_lo
	v_add_co_u32 v0, vcc_lo, s10, v0
	v_add_co_ci_u32_e64 v1, null, s11, v1, vcc_lo
	v_cmpx_gt_i32_e64 s9, v6
	s_cbranch_execz .LBB4_46
; %bb.45:
	v_mad_u64_u32 v[10:11], null, s12, v6, 0
	v_mov_b32_e32 v2, v11
	v_mad_u64_u32 v[11:12], null, s13, v6, v[2:3]
	v_lshlrev_b64 v[10:11], 3, v[10:11]
	v_add_co_u32 v10, vcc_lo, v0, v10
	v_add_co_ci_u32_e64 v11, null, v1, v11, vcc_lo
	global_load_dwordx2 v[10:11], v[10:11], off offset:1536
	s_waitcnt vmcnt(0) lgkmcnt(0)
	v_cmp_gt_f64_e64 vcc_lo, |v[10:11]|, s[6:7]
	v_add_co_ci_u32_e64 v9, null, 0, v9, vcc_lo
.LBB4_46:
	s_or_b32 exec_lo, exec_lo, s1
	v_or_b32_e32 v2, 1, v6
	s_mov_b32 s1, exec_lo
	v_cmpx_gt_i32_e64 s9, v2
	s_cbranch_execz .LBB4_48
; %bb.47:
	v_mad_u64_u32 v[10:11], null, s12, v2, 0
	v_mad_u64_u32 v[11:12], null, s13, v2, v[11:12]
	v_lshlrev_b64 v[10:11], 3, v[10:11]
	v_add_co_u32 v10, vcc_lo, v0, v10
	v_add_co_ci_u32_e64 v11, null, v1, v11, vcc_lo
	global_load_dwordx2 v[10:11], v[10:11], off offset:1536
	s_waitcnt vmcnt(0) lgkmcnt(0)
	v_cmp_gt_f64_e64 vcc_lo, |v[10:11]|, s[6:7]
	v_add_co_ci_u32_e64 v9, null, 0, v9, vcc_lo
.LBB4_48:
	s_or_b32 exec_lo, exec_lo, s1
	v_or_b32_e32 v2, 2, v6
	s_mov_b32 s1, exec_lo
	v_cmpx_gt_i32_e64 s9, v2
	s_cbranch_execz .LBB4_50
; %bb.49:
	v_mad_u64_u32 v[10:11], null, s12, v2, 0
	v_mad_u64_u32 v[11:12], null, s13, v2, v[11:12]
	v_lshlrev_b64 v[10:11], 3, v[10:11]
	v_add_co_u32 v10, vcc_lo, v0, v10
	v_add_co_ci_u32_e64 v11, null, v1, v11, vcc_lo
	global_load_dwordx2 v[10:11], v[10:11], off offset:1536
	s_waitcnt vmcnt(0) lgkmcnt(0)
	v_cmp_gt_f64_e64 vcc_lo, |v[10:11]|, s[6:7]
	v_add_co_ci_u32_e64 v9, null, 0, v9, vcc_lo
.LBB4_50:
	s_or_b32 exec_lo, exec_lo, s1
	v_or_b32_e32 v2, 3, v6
	s_mov_b32 s1, exec_lo
	v_cmpx_gt_i32_e64 s9, v2
	s_cbranch_execz .LBB4_52
; %bb.51:
	v_mad_u64_u32 v[10:11], null, s12, v2, 0
	v_mov_b32_e32 v6, v11
	v_mad_u64_u32 v[11:12], null, s13, v2, v[6:7]
	v_lshlrev_b64 v[10:11], 3, v[10:11]
	v_add_co_u32 v0, vcc_lo, v0, v10
	v_add_co_ci_u32_e64 v1, null, v1, v11, vcc_lo
	global_load_dwordx2 v[0:1], v[0:1], off offset:1536
	s_waitcnt vmcnt(0) lgkmcnt(0)
	v_cmp_gt_f64_e64 vcc_lo, |v[0:1]|, s[6:7]
	v_add_co_ci_u32_e64 v9, null, 0, v9, vcc_lo
.LBB4_52:
	s_or_b32 exec_lo, exec_lo, s1
.LBB4_53:
	s_or_b32 exec_lo, exec_lo, s0
.LBB4_54:
	v_lshlrev_b32_e32 v0, 4, v3
	v_lshlrev_b32_e32 v1, 2, v5
	s_mov_b32 s0, exec_lo
	v_and_or_b32 v0, 0x7ffffc00, v0, v1
	ds_write2st64_b32 v0, v4, v7 offset1:1
	ds_write2st64_b32 v0, v8, v9 offset0:2 offset1:3
	s_waitcnt lgkmcnt(0)
	s_barrier
	buffer_gl0_inv
	v_cmpx_gt_u32_e32 0x100, v3
	s_cbranch_execz .LBB4_57
; %bb.55:
	v_lshlrev_b32_e32 v10, 2, v3
	ds_read2st64_b32 v[0:1], v10 offset1:4
	ds_read2st64_b32 v[4:5], v10 offset0:8 offset1:12
	ds_read2st64_b32 v[6:7], v10 offset0:16 offset1:20
	;; [unrolled: 1-line block ×3, first 2 shown]
	s_waitcnt lgkmcnt(3)
	v_add_nc_u32_e32 v2, v1, v0
	ds_read2st64_b32 v[0:1], v10 offset0:32 offset1:36
	s_waitcnt lgkmcnt(3)
	v_add3_u32 v2, v2, v4, v5
	ds_read2st64_b32 v[4:5], v10 offset0:40 offset1:44
	s_waitcnt lgkmcnt(3)
	v_add3_u32 v2, v2, v6, v7
	;; [unrolled: 3-line block ×4, first 2 shown]
	s_waitcnt lgkmcnt(2)
	v_add3_u32 v0, v0, v4, v5
	s_waitcnt lgkmcnt(1)
	v_add3_u32 v1, v0, v6, v7
	v_or_b32_e32 v0, s5, v3
	s_waitcnt lgkmcnt(0)
	v_add3_u32 v2, v1, v8, v9
	v_cmp_gt_i32_e32 vcc_lo, s8, v0
	ds_write_b32 v10, v2
	s_and_b32 exec_lo, exec_lo, vcc_lo
	s_cbranch_execz .LBB4_57
; %bb.56:
	v_ashrrev_i32_e32 v1, 31, v0
	v_lshlrev_b64 v[0:1], 2, v[0:1]
	v_add_co_u32 v0, vcc_lo, s16, v0
	v_add_co_ci_u32_e64 v1, null, s17, v1, vcc_lo
	global_store_dword v[0:1], v2, off
.LBB4_57:
	s_endpgm
	.section	.rodata,"a",@progbits
	.p2align	6, 0x0
	.amdhsa_kernel _ZN9rocsparseL27prune_dense2csr_nnz_kernel2ILi64ELi16EdEEviiPKT1_lS3_Pi
		.amdhsa_group_segment_fixed_size 16384
		.amdhsa_private_segment_fixed_size 0
		.amdhsa_kernarg_size 296
		.amdhsa_user_sgpr_count 6
		.amdhsa_user_sgpr_private_segment_buffer 1
		.amdhsa_user_sgpr_dispatch_ptr 0
		.amdhsa_user_sgpr_queue_ptr 0
		.amdhsa_user_sgpr_kernarg_segment_ptr 1
		.amdhsa_user_sgpr_dispatch_id 0
		.amdhsa_user_sgpr_flat_scratch_init 0
		.amdhsa_user_sgpr_private_segment_size 0
		.amdhsa_wavefront_size32 1
		.amdhsa_uses_dynamic_stack 0
		.amdhsa_system_sgpr_private_segment_wavefront_offset 0
		.amdhsa_system_sgpr_workgroup_id_x 1
		.amdhsa_system_sgpr_workgroup_id_y 0
		.amdhsa_system_sgpr_workgroup_id_z 0
		.amdhsa_system_sgpr_workgroup_info 0
		.amdhsa_system_vgpr_workitem_id 1
		.amdhsa_next_free_vgpr 29
		.amdhsa_next_free_sgpr 21
		.amdhsa_reserve_vcc 1
		.amdhsa_reserve_flat_scratch 0
		.amdhsa_float_round_mode_32 0
		.amdhsa_float_round_mode_16_64 0
		.amdhsa_float_denorm_mode_32 3
		.amdhsa_float_denorm_mode_16_64 3
		.amdhsa_dx10_clamp 1
		.amdhsa_ieee_mode 1
		.amdhsa_fp16_overflow 0
		.amdhsa_workgroup_processor_mode 1
		.amdhsa_memory_ordered 1
		.amdhsa_forward_progress 1
		.amdhsa_shared_vgpr_count 0
		.amdhsa_exception_fp_ieee_invalid_op 0
		.amdhsa_exception_fp_denorm_src 0
		.amdhsa_exception_fp_ieee_div_zero 0
		.amdhsa_exception_fp_ieee_overflow 0
		.amdhsa_exception_fp_ieee_underflow 0
		.amdhsa_exception_fp_ieee_inexact 0
		.amdhsa_exception_int_div_zero 0
	.end_amdhsa_kernel
	.section	.text._ZN9rocsparseL27prune_dense2csr_nnz_kernel2ILi64ELi16EdEEviiPKT1_lS3_Pi,"axG",@progbits,_ZN9rocsparseL27prune_dense2csr_nnz_kernel2ILi64ELi16EdEEviiPKT1_lS3_Pi,comdat
.Lfunc_end4:
	.size	_ZN9rocsparseL27prune_dense2csr_nnz_kernel2ILi64ELi16EdEEviiPKT1_lS3_Pi, .Lfunc_end4-_ZN9rocsparseL27prune_dense2csr_nnz_kernel2ILi64ELi16EdEEviiPKT1_lS3_Pi
                                        ; -- End function
	.set _ZN9rocsparseL27prune_dense2csr_nnz_kernel2ILi64ELi16EdEEviiPKT1_lS3_Pi.num_vgpr, 29
	.set _ZN9rocsparseL27prune_dense2csr_nnz_kernel2ILi64ELi16EdEEviiPKT1_lS3_Pi.num_agpr, 0
	.set _ZN9rocsparseL27prune_dense2csr_nnz_kernel2ILi64ELi16EdEEviiPKT1_lS3_Pi.numbered_sgpr, 21
	.set _ZN9rocsparseL27prune_dense2csr_nnz_kernel2ILi64ELi16EdEEviiPKT1_lS3_Pi.num_named_barrier, 0
	.set _ZN9rocsparseL27prune_dense2csr_nnz_kernel2ILi64ELi16EdEEviiPKT1_lS3_Pi.private_seg_size, 0
	.set _ZN9rocsparseL27prune_dense2csr_nnz_kernel2ILi64ELi16EdEEviiPKT1_lS3_Pi.uses_vcc, 1
	.set _ZN9rocsparseL27prune_dense2csr_nnz_kernel2ILi64ELi16EdEEviiPKT1_lS3_Pi.uses_flat_scratch, 0
	.set _ZN9rocsparseL27prune_dense2csr_nnz_kernel2ILi64ELi16EdEEviiPKT1_lS3_Pi.has_dyn_sized_stack, 0
	.set _ZN9rocsparseL27prune_dense2csr_nnz_kernel2ILi64ELi16EdEEviiPKT1_lS3_Pi.has_recursion, 0
	.set _ZN9rocsparseL27prune_dense2csr_nnz_kernel2ILi64ELi16EdEEviiPKT1_lS3_Pi.has_indirect_call, 0
	.section	.AMDGPU.csdata,"",@progbits
; Kernel info:
; codeLenInByte = 3316
; TotalNumSgprs: 23
; NumVgprs: 29
; ScratchSize: 0
; MemoryBound: 0
; FloatMode: 240
; IeeeMode: 1
; LDSByteSize: 16384 bytes/workgroup (compile time only)
; SGPRBlocks: 0
; VGPRBlocks: 3
; NumSGPRsForWavesPerEU: 23
; NumVGPRsForWavesPerEU: 29
; Occupancy: 16
; WaveLimiterHint : 0
; COMPUTE_PGM_RSRC2:SCRATCH_EN: 0
; COMPUTE_PGM_RSRC2:USER_SGPR: 6
; COMPUTE_PGM_RSRC2:TRAP_HANDLER: 0
; COMPUTE_PGM_RSRC2:TGID_X_EN: 1
; COMPUTE_PGM_RSRC2:TGID_Y_EN: 0
; COMPUTE_PGM_RSRC2:TGID_Z_EN: 0
; COMPUTE_PGM_RSRC2:TIDIG_COMP_CNT: 1
	.section	.text._ZN9rocsparseL38prune_dense2csr_kernel2_device_pointerILi16ELi32EfEEv21rocsparse_index_base_iiPKT1_lS4_PS2_PKiPi,"axG",@progbits,_ZN9rocsparseL38prune_dense2csr_kernel2_device_pointerILi16ELi32EfEEv21rocsparse_index_base_iiPKT1_lS4_PS2_PKiPi,comdat
	.globl	_ZN9rocsparseL38prune_dense2csr_kernel2_device_pointerILi16ELi32EfEEv21rocsparse_index_base_iiPKT1_lS4_PS2_PKiPi ; -- Begin function _ZN9rocsparseL38prune_dense2csr_kernel2_device_pointerILi16ELi32EfEEv21rocsparse_index_base_iiPKT1_lS4_PS2_PKiPi
	.p2align	8
	.type	_ZN9rocsparseL38prune_dense2csr_kernel2_device_pointerILi16ELi32EfEEv21rocsparse_index_base_iiPKT1_lS4_PS2_PKiPi,@function
_ZN9rocsparseL38prune_dense2csr_kernel2_device_pointerILi16ELi32EfEEv21rocsparse_index_base_iiPKT1_lS4_PS2_PKiPi: ; @_ZN9rocsparseL38prune_dense2csr_kernel2_device_pointerILi16ELi32EfEEv21rocsparse_index_base_iiPKT1_lS4_PS2_PKiPi
; %bb.0:
	s_load_dwordx4 s[16:19], s[4:5], 0x0
	v_lshrrev_b32_e32 v1, 5, v0
	s_mov_b32 s0, exec_lo
	v_lshl_or_b32 v1, s6, 4, v1
	s_waitcnt lgkmcnt(0)
	v_cmpx_gt_i32_e64 s17, v1
	s_cbranch_execz .LBB5_6
; %bb.1:
	v_and_b32_e32 v3, 31, v0
	v_cmp_gt_i32_e32 vcc_lo, s18, v3
	s_and_b32 exec_lo, exec_lo, vcc_lo
	s_cbranch_execz .LBB5_6
; %bb.2:
	s_load_dwordx8 s[8:15], s[4:5], 0x18
	v_ashrrev_i32_e32 v2, 31, v1
	v_xor_b32_e32 v8, 31, v3
	v_lshlrev_b64 v[0:1], 2, v[1:2]
	s_waitcnt lgkmcnt(0)
	v_add_co_u32 v4, vcc_lo, s14, v0
	v_add_co_ci_u32_e64 v5, null, s15, v1, vcc_lo
	global_load_dword v7, v[4:5], off
	v_mad_u64_u32 v[4:5], null, s8, v3, 0
	s_clause 0x1
	s_load_dwordx2 s[6:7], s[4:5], 0x10
	s_load_dwordx2 s[2:3], s[4:5], 0x38
	s_load_dword s1, s[10:11], 0x0
	s_lshl_b64 s[4:5], s[8:9], 7
	v_mov_b32_e32 v2, v5
	v_mad_u64_u32 v[5:6], null, s9, v3, v[2:3]
	v_mov_b32_e32 v2, 0x7c
	v_lshlrev_b64 v[5:6], 2, v[4:5]
	v_lshrrev_b32_e64 v4, v8, -1
	v_add_co_u32 v0, vcc_lo, v5, v0
	v_add_co_ci_u32_e64 v1, null, v6, v1, vcc_lo
	s_waitcnt lgkmcnt(0)
	v_add_co_u32 v0, vcc_lo, s6, v0
	v_add_co_ci_u32_e64 v1, null, s7, v1, vcc_lo
	s_mov_b32 s6, 0
	s_waitcnt vmcnt(0)
	v_subrev_nc_u32_e32 v5, s16, v7
	s_inst_prefetch 0x1
	s_branch .LBB5_4
	.p2align	6
.LBB5_3:                                ;   in Loop: Header=BB5_4 Depth=1
	s_or_b32 exec_lo, exec_lo, s0
	ds_bpermute_b32 v6, v2, v6
	v_add_nc_u32_e32 v3, 32, v3
	v_add_co_u32 v0, s0, v0, s4
	v_add_co_ci_u32_e64 v1, null, s5, v1, s0
	v_cmp_le_i32_e32 vcc_lo, s18, v3
	s_or_b32 s6, vcc_lo, s6
	s_waitcnt lgkmcnt(0)
	v_add_nc_u32_e32 v5, v6, v5
	s_andn2_b32 exec_lo, exec_lo, s6
	s_cbranch_execz .LBB5_6
.LBB5_4:                                ; =>This Inner Loop Header: Depth=1
	s_barrier
	buffer_gl0_inv
	global_load_dword v7, v[0:1], off
	s_waitcnt vmcnt(0)
	v_cmp_gt_f32_e64 s7, |v7|, s1
	v_and_b32_e32 v6, s7, v4
	v_bcnt_u32_b32 v6, v6, 0
	s_and_saveexec_b32 s0, s7
	s_cbranch_execz .LBB5_3
; %bb.5:                                ;   in Loop: Header=BB5_4 Depth=1
	v_ashrrev_i32_e32 v9, 31, v5
	v_add_co_u32 v8, vcc_lo, v5, v6
	v_add_nc_u32_e32 v12, s16, v3
	v_add_co_ci_u32_e64 v9, null, 0, v9, vcc_lo
	v_lshlrev_b64 v[8:9], 2, v[8:9]
	v_add_co_u32 v10, vcc_lo, s12, v8
	v_add_co_ci_u32_e64 v11, null, s13, v9, vcc_lo
	v_add_co_u32 v8, vcc_lo, s2, v8
	v_add_co_ci_u32_e64 v9, null, s3, v9, vcc_lo
	global_store_dword v[10:11], v7, off offset:-4
	global_store_dword v[8:9], v12, off offset:-4
	s_branch .LBB5_3
.LBB5_6:
	s_inst_prefetch 0x2
	s_endpgm
	.section	.rodata,"a",@progbits
	.p2align	6, 0x0
	.amdhsa_kernel _ZN9rocsparseL38prune_dense2csr_kernel2_device_pointerILi16ELi32EfEEv21rocsparse_index_base_iiPKT1_lS4_PS2_PKiPi
		.amdhsa_group_segment_fixed_size 0
		.amdhsa_private_segment_fixed_size 0
		.amdhsa_kernarg_size 64
		.amdhsa_user_sgpr_count 6
		.amdhsa_user_sgpr_private_segment_buffer 1
		.amdhsa_user_sgpr_dispatch_ptr 0
		.amdhsa_user_sgpr_queue_ptr 0
		.amdhsa_user_sgpr_kernarg_segment_ptr 1
		.amdhsa_user_sgpr_dispatch_id 0
		.amdhsa_user_sgpr_flat_scratch_init 0
		.amdhsa_user_sgpr_private_segment_size 0
		.amdhsa_wavefront_size32 1
		.amdhsa_uses_dynamic_stack 0
		.amdhsa_system_sgpr_private_segment_wavefront_offset 0
		.amdhsa_system_sgpr_workgroup_id_x 1
		.amdhsa_system_sgpr_workgroup_id_y 0
		.amdhsa_system_sgpr_workgroup_id_z 0
		.amdhsa_system_sgpr_workgroup_info 0
		.amdhsa_system_vgpr_workitem_id 0
		.amdhsa_next_free_vgpr 13
		.amdhsa_next_free_sgpr 20
		.amdhsa_reserve_vcc 1
		.amdhsa_reserve_flat_scratch 0
		.amdhsa_float_round_mode_32 0
		.amdhsa_float_round_mode_16_64 0
		.amdhsa_float_denorm_mode_32 3
		.amdhsa_float_denorm_mode_16_64 3
		.amdhsa_dx10_clamp 1
		.amdhsa_ieee_mode 1
		.amdhsa_fp16_overflow 0
		.amdhsa_workgroup_processor_mode 1
		.amdhsa_memory_ordered 1
		.amdhsa_forward_progress 1
		.amdhsa_shared_vgpr_count 0
		.amdhsa_exception_fp_ieee_invalid_op 0
		.amdhsa_exception_fp_denorm_src 0
		.amdhsa_exception_fp_ieee_div_zero 0
		.amdhsa_exception_fp_ieee_overflow 0
		.amdhsa_exception_fp_ieee_underflow 0
		.amdhsa_exception_fp_ieee_inexact 0
		.amdhsa_exception_int_div_zero 0
	.end_amdhsa_kernel
	.section	.text._ZN9rocsparseL38prune_dense2csr_kernel2_device_pointerILi16ELi32EfEEv21rocsparse_index_base_iiPKT1_lS4_PS2_PKiPi,"axG",@progbits,_ZN9rocsparseL38prune_dense2csr_kernel2_device_pointerILi16ELi32EfEEv21rocsparse_index_base_iiPKT1_lS4_PS2_PKiPi,comdat
.Lfunc_end5:
	.size	_ZN9rocsparseL38prune_dense2csr_kernel2_device_pointerILi16ELi32EfEEv21rocsparse_index_base_iiPKT1_lS4_PS2_PKiPi, .Lfunc_end5-_ZN9rocsparseL38prune_dense2csr_kernel2_device_pointerILi16ELi32EfEEv21rocsparse_index_base_iiPKT1_lS4_PS2_PKiPi
                                        ; -- End function
	.set _ZN9rocsparseL38prune_dense2csr_kernel2_device_pointerILi16ELi32EfEEv21rocsparse_index_base_iiPKT1_lS4_PS2_PKiPi.num_vgpr, 13
	.set _ZN9rocsparseL38prune_dense2csr_kernel2_device_pointerILi16ELi32EfEEv21rocsparse_index_base_iiPKT1_lS4_PS2_PKiPi.num_agpr, 0
	.set _ZN9rocsparseL38prune_dense2csr_kernel2_device_pointerILi16ELi32EfEEv21rocsparse_index_base_iiPKT1_lS4_PS2_PKiPi.numbered_sgpr, 20
	.set _ZN9rocsparseL38prune_dense2csr_kernel2_device_pointerILi16ELi32EfEEv21rocsparse_index_base_iiPKT1_lS4_PS2_PKiPi.num_named_barrier, 0
	.set _ZN9rocsparseL38prune_dense2csr_kernel2_device_pointerILi16ELi32EfEEv21rocsparse_index_base_iiPKT1_lS4_PS2_PKiPi.private_seg_size, 0
	.set _ZN9rocsparseL38prune_dense2csr_kernel2_device_pointerILi16ELi32EfEEv21rocsparse_index_base_iiPKT1_lS4_PS2_PKiPi.uses_vcc, 1
	.set _ZN9rocsparseL38prune_dense2csr_kernel2_device_pointerILi16ELi32EfEEv21rocsparse_index_base_iiPKT1_lS4_PS2_PKiPi.uses_flat_scratch, 0
	.set _ZN9rocsparseL38prune_dense2csr_kernel2_device_pointerILi16ELi32EfEEv21rocsparse_index_base_iiPKT1_lS4_PS2_PKiPi.has_dyn_sized_stack, 0
	.set _ZN9rocsparseL38prune_dense2csr_kernel2_device_pointerILi16ELi32EfEEv21rocsparse_index_base_iiPKT1_lS4_PS2_PKiPi.has_recursion, 0
	.set _ZN9rocsparseL38prune_dense2csr_kernel2_device_pointerILi16ELi32EfEEv21rocsparse_index_base_iiPKT1_lS4_PS2_PKiPi.has_indirect_call, 0
	.section	.AMDGPU.csdata,"",@progbits
; Kernel info:
; codeLenInByte = 456
; TotalNumSgprs: 22
; NumVgprs: 13
; ScratchSize: 0
; MemoryBound: 0
; FloatMode: 240
; IeeeMode: 1
; LDSByteSize: 0 bytes/workgroup (compile time only)
; SGPRBlocks: 0
; VGPRBlocks: 1
; NumSGPRsForWavesPerEU: 22
; NumVGPRsForWavesPerEU: 13
; Occupancy: 16
; WaveLimiterHint : 0
; COMPUTE_PGM_RSRC2:SCRATCH_EN: 0
; COMPUTE_PGM_RSRC2:USER_SGPR: 6
; COMPUTE_PGM_RSRC2:TRAP_HANDLER: 0
; COMPUTE_PGM_RSRC2:TGID_X_EN: 1
; COMPUTE_PGM_RSRC2:TGID_Y_EN: 0
; COMPUTE_PGM_RSRC2:TGID_Z_EN: 0
; COMPUTE_PGM_RSRC2:TIDIG_COMP_CNT: 0
	.section	.text._ZN9rocsparseL38prune_dense2csr_kernel2_device_pointerILi16ELi64EfEEv21rocsparse_index_base_iiPKT1_lS4_PS2_PKiPi,"axG",@progbits,_ZN9rocsparseL38prune_dense2csr_kernel2_device_pointerILi16ELi64EfEEv21rocsparse_index_base_iiPKT1_lS4_PS2_PKiPi,comdat
	.globl	_ZN9rocsparseL38prune_dense2csr_kernel2_device_pointerILi16ELi64EfEEv21rocsparse_index_base_iiPKT1_lS4_PS2_PKiPi ; -- Begin function _ZN9rocsparseL38prune_dense2csr_kernel2_device_pointerILi16ELi64EfEEv21rocsparse_index_base_iiPKT1_lS4_PS2_PKiPi
	.p2align	8
	.type	_ZN9rocsparseL38prune_dense2csr_kernel2_device_pointerILi16ELi64EfEEv21rocsparse_index_base_iiPKT1_lS4_PS2_PKiPi,@function
_ZN9rocsparseL38prune_dense2csr_kernel2_device_pointerILi16ELi64EfEEv21rocsparse_index_base_iiPKT1_lS4_PS2_PKiPi: ; @_ZN9rocsparseL38prune_dense2csr_kernel2_device_pointerILi16ELi64EfEEv21rocsparse_index_base_iiPKT1_lS4_PS2_PKiPi
; %bb.0:
	s_load_dwordx4 s[16:19], s[4:5], 0x0
	v_lshrrev_b32_e32 v1, 6, v0
	s_mov_b32 s0, exec_lo
	v_lshl_or_b32 v1, s6, 4, v1
	s_waitcnt lgkmcnt(0)
	v_cmpx_gt_i32_e64 s17, v1
	s_cbranch_execz .LBB6_6
; %bb.1:
	v_and_b32_e32 v3, 63, v0
	v_cmp_gt_i32_e32 vcc_lo, s18, v3
	s_and_b32 exec_lo, exec_lo, vcc_lo
	s_cbranch_execz .LBB6_6
; %bb.2:
	s_load_dwordx8 s[8:15], s[4:5], 0x18
	v_ashrrev_i32_e32 v2, 31, v1
	v_mov_b32_e32 v4, 0x7c
	v_lshlrev_b64 v[5:6], 2, v[1:2]
	s_waitcnt lgkmcnt(0)
	v_add_co_u32 v0, vcc_lo, s14, v5
	v_add_co_ci_u32_e64 v1, null, s15, v6, vcc_lo
	global_load_dword v9, v[0:1], off
	v_mad_u64_u32 v[0:1], null, s8, v3, 0
	s_clause 0x1
	s_load_dwordx2 s[6:7], s[4:5], 0x10
	s_load_dwordx2 s[2:3], s[4:5], 0x38
	s_load_dword s1, s[10:11], 0x0
	s_lshl_b64 s[4:5], s[8:9], 8
	v_mad_u64_u32 v[1:2], null, s9, v3, v[1:2]
	v_xor_b32_e32 v2, 63, v3
	v_lshlrev_b64 v[7:8], 2, v[0:1]
	v_lshrrev_b64 v[0:1], v2, -1
	v_add_co_u32 v1, vcc_lo, v7, v5
	v_add_co_ci_u32_e64 v2, null, v8, v6, vcc_lo
	s_waitcnt lgkmcnt(0)
	v_add_co_u32 v1, vcc_lo, s6, v1
	v_add_co_ci_u32_e64 v2, null, s7, v2, vcc_lo
	s_mov_b32 s6, 0
	s_waitcnt vmcnt(0)
	v_subrev_nc_u32_e32 v5, s16, v9
	s_inst_prefetch 0x1
	s_branch .LBB6_4
	.p2align	6
.LBB6_3:                                ;   in Loop: Header=BB6_4 Depth=1
	s_or_b32 exec_lo, exec_lo, s0
	ds_bpermute_b32 v6, v4, v6
	v_add_nc_u32_e32 v3, 64, v3
	v_add_co_u32 v1, s0, v1, s4
	v_add_co_ci_u32_e64 v2, null, s5, v2, s0
	v_cmp_le_i32_e32 vcc_lo, s18, v3
	s_or_b32 s6, vcc_lo, s6
	s_waitcnt lgkmcnt(0)
	v_add_nc_u32_e32 v5, v6, v5
	s_andn2_b32 exec_lo, exec_lo, s6
	s_cbranch_execz .LBB6_6
.LBB6_4:                                ; =>This Inner Loop Header: Depth=1
	s_barrier
	buffer_gl0_inv
	global_load_dword v7, v[1:2], off
	s_waitcnt vmcnt(0)
	v_cmp_gt_f32_e64 s7, |v7|, s1
	v_and_b32_e32 v6, s7, v0
	v_bcnt_u32_b32 v6, v6, 0
	s_and_saveexec_b32 s0, s7
	s_cbranch_execz .LBB6_3
; %bb.5:                                ;   in Loop: Header=BB6_4 Depth=1
	v_ashrrev_i32_e32 v9, 31, v5
	v_add_co_u32 v8, vcc_lo, v5, v6
	v_add_nc_u32_e32 v12, s16, v3
	v_add_co_ci_u32_e64 v9, null, 0, v9, vcc_lo
	v_lshlrev_b64 v[8:9], 2, v[8:9]
	v_add_co_u32 v10, vcc_lo, s12, v8
	v_add_co_ci_u32_e64 v11, null, s13, v9, vcc_lo
	v_add_co_u32 v8, vcc_lo, s2, v8
	v_add_co_ci_u32_e64 v9, null, s3, v9, vcc_lo
	global_store_dword v[10:11], v7, off offset:-4
	global_store_dword v[8:9], v12, off offset:-4
	s_branch .LBB6_3
.LBB6_6:
	s_inst_prefetch 0x2
	s_endpgm
	.section	.rodata,"a",@progbits
	.p2align	6, 0x0
	.amdhsa_kernel _ZN9rocsparseL38prune_dense2csr_kernel2_device_pointerILi16ELi64EfEEv21rocsparse_index_base_iiPKT1_lS4_PS2_PKiPi
		.amdhsa_group_segment_fixed_size 0
		.amdhsa_private_segment_fixed_size 0
		.amdhsa_kernarg_size 64
		.amdhsa_user_sgpr_count 6
		.amdhsa_user_sgpr_private_segment_buffer 1
		.amdhsa_user_sgpr_dispatch_ptr 0
		.amdhsa_user_sgpr_queue_ptr 0
		.amdhsa_user_sgpr_kernarg_segment_ptr 1
		.amdhsa_user_sgpr_dispatch_id 0
		.amdhsa_user_sgpr_flat_scratch_init 0
		.amdhsa_user_sgpr_private_segment_size 0
		.amdhsa_wavefront_size32 1
		.amdhsa_uses_dynamic_stack 0
		.amdhsa_system_sgpr_private_segment_wavefront_offset 0
		.amdhsa_system_sgpr_workgroup_id_x 1
		.amdhsa_system_sgpr_workgroup_id_y 0
		.amdhsa_system_sgpr_workgroup_id_z 0
		.amdhsa_system_sgpr_workgroup_info 0
		.amdhsa_system_vgpr_workitem_id 0
		.amdhsa_next_free_vgpr 13
		.amdhsa_next_free_sgpr 20
		.amdhsa_reserve_vcc 1
		.amdhsa_reserve_flat_scratch 0
		.amdhsa_float_round_mode_32 0
		.amdhsa_float_round_mode_16_64 0
		.amdhsa_float_denorm_mode_32 3
		.amdhsa_float_denorm_mode_16_64 3
		.amdhsa_dx10_clamp 1
		.amdhsa_ieee_mode 1
		.amdhsa_fp16_overflow 0
		.amdhsa_workgroup_processor_mode 1
		.amdhsa_memory_ordered 1
		.amdhsa_forward_progress 1
		.amdhsa_shared_vgpr_count 0
		.amdhsa_exception_fp_ieee_invalid_op 0
		.amdhsa_exception_fp_denorm_src 0
		.amdhsa_exception_fp_ieee_div_zero 0
		.amdhsa_exception_fp_ieee_overflow 0
		.amdhsa_exception_fp_ieee_underflow 0
		.amdhsa_exception_fp_ieee_inexact 0
		.amdhsa_exception_int_div_zero 0
	.end_amdhsa_kernel
	.section	.text._ZN9rocsparseL38prune_dense2csr_kernel2_device_pointerILi16ELi64EfEEv21rocsparse_index_base_iiPKT1_lS4_PS2_PKiPi,"axG",@progbits,_ZN9rocsparseL38prune_dense2csr_kernel2_device_pointerILi16ELi64EfEEv21rocsparse_index_base_iiPKT1_lS4_PS2_PKiPi,comdat
.Lfunc_end6:
	.size	_ZN9rocsparseL38prune_dense2csr_kernel2_device_pointerILi16ELi64EfEEv21rocsparse_index_base_iiPKT1_lS4_PS2_PKiPi, .Lfunc_end6-_ZN9rocsparseL38prune_dense2csr_kernel2_device_pointerILi16ELi64EfEEv21rocsparse_index_base_iiPKT1_lS4_PS2_PKiPi
                                        ; -- End function
	.set _ZN9rocsparseL38prune_dense2csr_kernel2_device_pointerILi16ELi64EfEEv21rocsparse_index_base_iiPKT1_lS4_PS2_PKiPi.num_vgpr, 13
	.set _ZN9rocsparseL38prune_dense2csr_kernel2_device_pointerILi16ELi64EfEEv21rocsparse_index_base_iiPKT1_lS4_PS2_PKiPi.num_agpr, 0
	.set _ZN9rocsparseL38prune_dense2csr_kernel2_device_pointerILi16ELi64EfEEv21rocsparse_index_base_iiPKT1_lS4_PS2_PKiPi.numbered_sgpr, 20
	.set _ZN9rocsparseL38prune_dense2csr_kernel2_device_pointerILi16ELi64EfEEv21rocsparse_index_base_iiPKT1_lS4_PS2_PKiPi.num_named_barrier, 0
	.set _ZN9rocsparseL38prune_dense2csr_kernel2_device_pointerILi16ELi64EfEEv21rocsparse_index_base_iiPKT1_lS4_PS2_PKiPi.private_seg_size, 0
	.set _ZN9rocsparseL38prune_dense2csr_kernel2_device_pointerILi16ELi64EfEEv21rocsparse_index_base_iiPKT1_lS4_PS2_PKiPi.uses_vcc, 1
	.set _ZN9rocsparseL38prune_dense2csr_kernel2_device_pointerILi16ELi64EfEEv21rocsparse_index_base_iiPKT1_lS4_PS2_PKiPi.uses_flat_scratch, 0
	.set _ZN9rocsparseL38prune_dense2csr_kernel2_device_pointerILi16ELi64EfEEv21rocsparse_index_base_iiPKT1_lS4_PS2_PKiPi.has_dyn_sized_stack, 0
	.set _ZN9rocsparseL38prune_dense2csr_kernel2_device_pointerILi16ELi64EfEEv21rocsparse_index_base_iiPKT1_lS4_PS2_PKiPi.has_recursion, 0
	.set _ZN9rocsparseL38prune_dense2csr_kernel2_device_pointerILi16ELi64EfEEv21rocsparse_index_base_iiPKT1_lS4_PS2_PKiPi.has_indirect_call, 0
	.section	.AMDGPU.csdata,"",@progbits
; Kernel info:
; codeLenInByte = 456
; TotalNumSgprs: 22
; NumVgprs: 13
; ScratchSize: 0
; MemoryBound: 0
; FloatMode: 240
; IeeeMode: 1
; LDSByteSize: 0 bytes/workgroup (compile time only)
; SGPRBlocks: 0
; VGPRBlocks: 1
; NumSGPRsForWavesPerEU: 22
; NumVGPRsForWavesPerEU: 13
; Occupancy: 16
; WaveLimiterHint : 0
; COMPUTE_PGM_RSRC2:SCRATCH_EN: 0
; COMPUTE_PGM_RSRC2:USER_SGPR: 6
; COMPUTE_PGM_RSRC2:TRAP_HANDLER: 0
; COMPUTE_PGM_RSRC2:TGID_X_EN: 1
; COMPUTE_PGM_RSRC2:TGID_Y_EN: 0
; COMPUTE_PGM_RSRC2:TGID_Z_EN: 0
; COMPUTE_PGM_RSRC2:TIDIG_COMP_CNT: 0
	.section	.text._ZN9rocsparseL38prune_dense2csr_kernel2_device_pointerILi8ELi32EdEEv21rocsparse_index_base_iiPKT1_lS4_PS2_PKiPi,"axG",@progbits,_ZN9rocsparseL38prune_dense2csr_kernel2_device_pointerILi8ELi32EdEEv21rocsparse_index_base_iiPKT1_lS4_PS2_PKiPi,comdat
	.globl	_ZN9rocsparseL38prune_dense2csr_kernel2_device_pointerILi8ELi32EdEEv21rocsparse_index_base_iiPKT1_lS4_PS2_PKiPi ; -- Begin function _ZN9rocsparseL38prune_dense2csr_kernel2_device_pointerILi8ELi32EdEEv21rocsparse_index_base_iiPKT1_lS4_PS2_PKiPi
	.p2align	8
	.type	_ZN9rocsparseL38prune_dense2csr_kernel2_device_pointerILi8ELi32EdEEv21rocsparse_index_base_iiPKT1_lS4_PS2_PKiPi,@function
_ZN9rocsparseL38prune_dense2csr_kernel2_device_pointerILi8ELi32EdEEv21rocsparse_index_base_iiPKT1_lS4_PS2_PKiPi: ; @_ZN9rocsparseL38prune_dense2csr_kernel2_device_pointerILi8ELi32EdEEv21rocsparse_index_base_iiPKT1_lS4_PS2_PKiPi
; %bb.0:
	s_load_dwordx4 s[16:19], s[4:5], 0x0
	v_lshrrev_b32_e32 v1, 5, v0
	s_mov_b32 s0, exec_lo
	v_lshl_or_b32 v1, s6, 3, v1
	s_waitcnt lgkmcnt(0)
	v_cmpx_gt_i32_e64 s17, v1
	s_cbranch_execz .LBB7_6
; %bb.1:
	v_and_b32_e32 v4, 31, v0
	v_cmp_gt_i32_e32 vcc_lo, s18, v4
	s_and_b32 exec_lo, exec_lo, vcc_lo
	s_cbranch_execz .LBB7_6
; %bb.2:
	s_load_dwordx8 s[8:15], s[4:5], 0x18
	v_ashrrev_i32_e32 v2, 31, v1
	v_lshlrev_b64 v[5:6], 2, v[1:2]
	s_waitcnt lgkmcnt(0)
	v_add_co_u32 v5, vcc_lo, s14, v5
	v_add_co_ci_u32_e64 v6, null, s15, v6, vcc_lo
	s_lshl_b64 s[6:7], s[8:9], 8
	global_load_dword v8, v[5:6], off
	v_mad_u64_u32 v[5:6], null, s8, v4, 0
	s_clause 0x1
	s_load_dwordx2 s[0:1], s[4:5], 0x10
	s_load_dwordx2 s[2:3], s[4:5], 0x38
	;; [unrolled: 1-line block ×3, first 2 shown]
	v_mov_b32_e32 v0, v6
	v_mad_u64_u32 v[6:7], null, s9, v4, v[0:1]
	v_lshlrev_b64 v[0:1], 3, v[1:2]
	v_xor_b32_e32 v7, 31, v4
	v_lshlrev_b64 v[2:3], 3, v[5:6]
	v_mov_b32_e32 v5, 0x7c
	v_lshrrev_b32_e64 v6, v7, -1
	v_add_co_u32 v0, vcc_lo, v2, v0
	v_add_co_ci_u32_e64 v1, null, v3, v1, vcc_lo
	s_waitcnt lgkmcnt(0)
	v_add_co_u32 v0, vcc_lo, s0, v0
	v_add_co_ci_u32_e64 v1, null, s1, v1, vcc_lo
	s_mov_b32 s1, 0
	s_waitcnt vmcnt(0)
	v_subrev_nc_u32_e32 v7, s16, v8
	s_inst_prefetch 0x1
	s_branch .LBB7_4
	.p2align	6
.LBB7_3:                                ;   in Loop: Header=BB7_4 Depth=1
	s_or_b32 exec_lo, exec_lo, s0
	ds_bpermute_b32 v2, v5, v8
	v_add_nc_u32_e32 v4, 32, v4
	v_add_co_u32 v0, s0, v0, s6
	v_add_co_ci_u32_e64 v1, null, s7, v1, s0
	v_cmp_le_i32_e32 vcc_lo, s18, v4
	s_or_b32 s1, vcc_lo, s1
	s_waitcnt lgkmcnt(0)
	v_add_nc_u32_e32 v7, v2, v7
	s_andn2_b32 exec_lo, exec_lo, s1
	s_cbranch_execz .LBB7_6
.LBB7_4:                                ; =>This Inner Loop Header: Depth=1
	s_barrier
	buffer_gl0_inv
	global_load_dwordx2 v[2:3], v[0:1], off
	s_waitcnt vmcnt(0)
	v_cmp_gt_f64_e64 s8, |v[2:3]|, s[4:5]
	v_and_b32_e32 v8, s8, v6
	v_bcnt_u32_b32 v8, v8, 0
	s_and_saveexec_b32 s0, s8
	s_cbranch_execz .LBB7_3
; %bb.5:                                ;   in Loop: Header=BB7_4 Depth=1
	v_ashrrev_i32_e32 v10, 31, v7
	v_add_co_u32 v9, vcc_lo, v7, v8
	v_add_nc_u32_e32 v13, s16, v4
	v_add_co_ci_u32_e64 v10, null, 0, v10, vcc_lo
	v_lshlrev_b64 v[11:12], 3, v[9:10]
	v_lshlrev_b64 v[9:10], 2, v[9:10]
	v_add_co_u32 v11, vcc_lo, s12, v11
	v_add_co_ci_u32_e64 v12, null, s13, v12, vcc_lo
	v_add_co_u32 v9, vcc_lo, s2, v9
	v_add_co_ci_u32_e64 v10, null, s3, v10, vcc_lo
	global_store_dwordx2 v[11:12], v[2:3], off offset:-8
	global_store_dword v[9:10], v13, off offset:-4
	s_branch .LBB7_3
.LBB7_6:
	s_inst_prefetch 0x2
	s_endpgm
	.section	.rodata,"a",@progbits
	.p2align	6, 0x0
	.amdhsa_kernel _ZN9rocsparseL38prune_dense2csr_kernel2_device_pointerILi8ELi32EdEEv21rocsparse_index_base_iiPKT1_lS4_PS2_PKiPi
		.amdhsa_group_segment_fixed_size 0
		.amdhsa_private_segment_fixed_size 0
		.amdhsa_kernarg_size 64
		.amdhsa_user_sgpr_count 6
		.amdhsa_user_sgpr_private_segment_buffer 1
		.amdhsa_user_sgpr_dispatch_ptr 0
		.amdhsa_user_sgpr_queue_ptr 0
		.amdhsa_user_sgpr_kernarg_segment_ptr 1
		.amdhsa_user_sgpr_dispatch_id 0
		.amdhsa_user_sgpr_flat_scratch_init 0
		.amdhsa_user_sgpr_private_segment_size 0
		.amdhsa_wavefront_size32 1
		.amdhsa_uses_dynamic_stack 0
		.amdhsa_system_sgpr_private_segment_wavefront_offset 0
		.amdhsa_system_sgpr_workgroup_id_x 1
		.amdhsa_system_sgpr_workgroup_id_y 0
		.amdhsa_system_sgpr_workgroup_id_z 0
		.amdhsa_system_sgpr_workgroup_info 0
		.amdhsa_system_vgpr_workitem_id 0
		.amdhsa_next_free_vgpr 14
		.amdhsa_next_free_sgpr 20
		.amdhsa_reserve_vcc 1
		.amdhsa_reserve_flat_scratch 0
		.amdhsa_float_round_mode_32 0
		.amdhsa_float_round_mode_16_64 0
		.amdhsa_float_denorm_mode_32 3
		.amdhsa_float_denorm_mode_16_64 3
		.amdhsa_dx10_clamp 1
		.amdhsa_ieee_mode 1
		.amdhsa_fp16_overflow 0
		.amdhsa_workgroup_processor_mode 1
		.amdhsa_memory_ordered 1
		.amdhsa_forward_progress 1
		.amdhsa_shared_vgpr_count 0
		.amdhsa_exception_fp_ieee_invalid_op 0
		.amdhsa_exception_fp_denorm_src 0
		.amdhsa_exception_fp_ieee_div_zero 0
		.amdhsa_exception_fp_ieee_overflow 0
		.amdhsa_exception_fp_ieee_underflow 0
		.amdhsa_exception_fp_ieee_inexact 0
		.amdhsa_exception_int_div_zero 0
	.end_amdhsa_kernel
	.section	.text._ZN9rocsparseL38prune_dense2csr_kernel2_device_pointerILi8ELi32EdEEv21rocsparse_index_base_iiPKT1_lS4_PS2_PKiPi,"axG",@progbits,_ZN9rocsparseL38prune_dense2csr_kernel2_device_pointerILi8ELi32EdEEv21rocsparse_index_base_iiPKT1_lS4_PS2_PKiPi,comdat
.Lfunc_end7:
	.size	_ZN9rocsparseL38prune_dense2csr_kernel2_device_pointerILi8ELi32EdEEv21rocsparse_index_base_iiPKT1_lS4_PS2_PKiPi, .Lfunc_end7-_ZN9rocsparseL38prune_dense2csr_kernel2_device_pointerILi8ELi32EdEEv21rocsparse_index_base_iiPKT1_lS4_PS2_PKiPi
                                        ; -- End function
	.set _ZN9rocsparseL38prune_dense2csr_kernel2_device_pointerILi8ELi32EdEEv21rocsparse_index_base_iiPKT1_lS4_PS2_PKiPi.num_vgpr, 14
	.set _ZN9rocsparseL38prune_dense2csr_kernel2_device_pointerILi8ELi32EdEEv21rocsparse_index_base_iiPKT1_lS4_PS2_PKiPi.num_agpr, 0
	.set _ZN9rocsparseL38prune_dense2csr_kernel2_device_pointerILi8ELi32EdEEv21rocsparse_index_base_iiPKT1_lS4_PS2_PKiPi.numbered_sgpr, 20
	.set _ZN9rocsparseL38prune_dense2csr_kernel2_device_pointerILi8ELi32EdEEv21rocsparse_index_base_iiPKT1_lS4_PS2_PKiPi.num_named_barrier, 0
	.set _ZN9rocsparseL38prune_dense2csr_kernel2_device_pointerILi8ELi32EdEEv21rocsparse_index_base_iiPKT1_lS4_PS2_PKiPi.private_seg_size, 0
	.set _ZN9rocsparseL38prune_dense2csr_kernel2_device_pointerILi8ELi32EdEEv21rocsparse_index_base_iiPKT1_lS4_PS2_PKiPi.uses_vcc, 1
	.set _ZN9rocsparseL38prune_dense2csr_kernel2_device_pointerILi8ELi32EdEEv21rocsparse_index_base_iiPKT1_lS4_PS2_PKiPi.uses_flat_scratch, 0
	.set _ZN9rocsparseL38prune_dense2csr_kernel2_device_pointerILi8ELi32EdEEv21rocsparse_index_base_iiPKT1_lS4_PS2_PKiPi.has_dyn_sized_stack, 0
	.set _ZN9rocsparseL38prune_dense2csr_kernel2_device_pointerILi8ELi32EdEEv21rocsparse_index_base_iiPKT1_lS4_PS2_PKiPi.has_recursion, 0
	.set _ZN9rocsparseL38prune_dense2csr_kernel2_device_pointerILi8ELi32EdEEv21rocsparse_index_base_iiPKT1_lS4_PS2_PKiPi.has_indirect_call, 0
	.section	.AMDGPU.csdata,"",@progbits
; Kernel info:
; codeLenInByte = 464
; TotalNumSgprs: 22
; NumVgprs: 14
; ScratchSize: 0
; MemoryBound: 0
; FloatMode: 240
; IeeeMode: 1
; LDSByteSize: 0 bytes/workgroup (compile time only)
; SGPRBlocks: 0
; VGPRBlocks: 1
; NumSGPRsForWavesPerEU: 22
; NumVGPRsForWavesPerEU: 14
; Occupancy: 16
; WaveLimiterHint : 0
; COMPUTE_PGM_RSRC2:SCRATCH_EN: 0
; COMPUTE_PGM_RSRC2:USER_SGPR: 6
; COMPUTE_PGM_RSRC2:TRAP_HANDLER: 0
; COMPUTE_PGM_RSRC2:TGID_X_EN: 1
; COMPUTE_PGM_RSRC2:TGID_Y_EN: 0
; COMPUTE_PGM_RSRC2:TGID_Z_EN: 0
; COMPUTE_PGM_RSRC2:TIDIG_COMP_CNT: 0
	.section	.text._ZN9rocsparseL38prune_dense2csr_kernel2_device_pointerILi8ELi64EdEEv21rocsparse_index_base_iiPKT1_lS4_PS2_PKiPi,"axG",@progbits,_ZN9rocsparseL38prune_dense2csr_kernel2_device_pointerILi8ELi64EdEEv21rocsparse_index_base_iiPKT1_lS4_PS2_PKiPi,comdat
	.globl	_ZN9rocsparseL38prune_dense2csr_kernel2_device_pointerILi8ELi64EdEEv21rocsparse_index_base_iiPKT1_lS4_PS2_PKiPi ; -- Begin function _ZN9rocsparseL38prune_dense2csr_kernel2_device_pointerILi8ELi64EdEEv21rocsparse_index_base_iiPKT1_lS4_PS2_PKiPi
	.p2align	8
	.type	_ZN9rocsparseL38prune_dense2csr_kernel2_device_pointerILi8ELi64EdEEv21rocsparse_index_base_iiPKT1_lS4_PS2_PKiPi,@function
_ZN9rocsparseL38prune_dense2csr_kernel2_device_pointerILi8ELi64EdEEv21rocsparse_index_base_iiPKT1_lS4_PS2_PKiPi: ; @_ZN9rocsparseL38prune_dense2csr_kernel2_device_pointerILi8ELi64EdEEv21rocsparse_index_base_iiPKT1_lS4_PS2_PKiPi
; %bb.0:
	s_load_dwordx4 s[16:19], s[4:5], 0x0
	v_lshrrev_b32_e32 v1, 6, v0
	s_mov_b32 s0, exec_lo
	v_lshl_or_b32 v1, s6, 3, v1
	s_waitcnt lgkmcnt(0)
	v_cmpx_gt_i32_e64 s17, v1
	s_cbranch_execz .LBB8_6
; %bb.1:
	v_and_b32_e32 v5, 63, v0
	v_cmp_gt_i32_e32 vcc_lo, s18, v5
	s_and_b32 exec_lo, exec_lo, vcc_lo
	s_cbranch_execz .LBB8_6
; %bb.2:
	s_load_dwordx8 s[8:15], s[4:5], 0x18
	v_ashrrev_i32_e32 v2, 31, v1
	s_clause 0x1
	s_load_dwordx2 s[0:1], s[4:5], 0x10
	s_load_dwordx2 s[2:3], s[4:5], 0x38
	v_lshlrev_b64 v[3:4], 2, v[1:2]
	s_waitcnt lgkmcnt(0)
	v_add_co_u32 v3, vcc_lo, s14, v3
	v_add_co_ci_u32_e64 v4, null, s15, v4, vcc_lo
	s_load_dwordx2 s[4:5], s[10:11], 0x0
	s_lshl_b64 s[6:7], s[8:9], 9
	global_load_dword v9, v[3:4], off
	v_mad_u64_u32 v[3:4], null, s8, v5, 0
	v_mov_b32_e32 v0, v4
	v_mad_u64_u32 v[6:7], null, s9, v5, v[0:1]
	v_xor_b32_e32 v0, 63, v5
	v_lshlrev_b64 v[7:8], 3, v[1:2]
	v_lshrrev_b64 v[0:1], v0, -1
	v_mov_b32_e32 v4, v6
	v_mov_b32_e32 v6, 0x7c
	v_lshlrev_b64 v[2:3], 3, v[3:4]
	v_add_co_u32 v1, vcc_lo, v2, v7
	v_add_co_ci_u32_e64 v2, null, v3, v8, vcc_lo
	v_add_co_u32 v1, vcc_lo, s0, v1
	v_add_co_ci_u32_e64 v2, null, s1, v2, vcc_lo
	s_mov_b32 s1, 0
	s_waitcnt vmcnt(0)
	v_subrev_nc_u32_e32 v7, s16, v9
	s_inst_prefetch 0x1
	s_branch .LBB8_4
	.p2align	6
.LBB8_3:                                ;   in Loop: Header=BB8_4 Depth=1
	s_or_b32 exec_lo, exec_lo, s0
	ds_bpermute_b32 v3, v6, v8
	v_add_nc_u32_e32 v5, 64, v5
	v_add_co_u32 v1, s0, v1, s6
	v_add_co_ci_u32_e64 v2, null, s7, v2, s0
	v_cmp_le_i32_e32 vcc_lo, s18, v5
	s_or_b32 s1, vcc_lo, s1
	s_waitcnt lgkmcnt(0)
	v_add_nc_u32_e32 v7, v3, v7
	s_andn2_b32 exec_lo, exec_lo, s1
	s_cbranch_execz .LBB8_6
.LBB8_4:                                ; =>This Inner Loop Header: Depth=1
	s_waitcnt lgkmcnt(0)
	s_barrier
	buffer_gl0_inv
	global_load_dwordx2 v[3:4], v[1:2], off
	s_waitcnt vmcnt(0)
	v_cmp_gt_f64_e64 s8, |v[3:4]|, s[4:5]
	v_and_b32_e32 v8, s8, v0
	v_bcnt_u32_b32 v8, v8, 0
	s_and_saveexec_b32 s0, s8
	s_cbranch_execz .LBB8_3
; %bb.5:                                ;   in Loop: Header=BB8_4 Depth=1
	v_ashrrev_i32_e32 v10, 31, v7
	v_add_co_u32 v9, vcc_lo, v7, v8
	v_add_nc_u32_e32 v13, s16, v5
	v_add_co_ci_u32_e64 v10, null, 0, v10, vcc_lo
	v_lshlrev_b64 v[11:12], 3, v[9:10]
	v_lshlrev_b64 v[9:10], 2, v[9:10]
	v_add_co_u32 v11, vcc_lo, s12, v11
	v_add_co_ci_u32_e64 v12, null, s13, v12, vcc_lo
	v_add_co_u32 v9, vcc_lo, s2, v9
	v_add_co_ci_u32_e64 v10, null, s3, v10, vcc_lo
	global_store_dwordx2 v[11:12], v[3:4], off offset:-8
	global_store_dword v[9:10], v13, off offset:-4
	s_branch .LBB8_3
.LBB8_6:
	s_inst_prefetch 0x2
	s_endpgm
	.section	.rodata,"a",@progbits
	.p2align	6, 0x0
	.amdhsa_kernel _ZN9rocsparseL38prune_dense2csr_kernel2_device_pointerILi8ELi64EdEEv21rocsparse_index_base_iiPKT1_lS4_PS2_PKiPi
		.amdhsa_group_segment_fixed_size 0
		.amdhsa_private_segment_fixed_size 0
		.amdhsa_kernarg_size 64
		.amdhsa_user_sgpr_count 6
		.amdhsa_user_sgpr_private_segment_buffer 1
		.amdhsa_user_sgpr_dispatch_ptr 0
		.amdhsa_user_sgpr_queue_ptr 0
		.amdhsa_user_sgpr_kernarg_segment_ptr 1
		.amdhsa_user_sgpr_dispatch_id 0
		.amdhsa_user_sgpr_flat_scratch_init 0
		.amdhsa_user_sgpr_private_segment_size 0
		.amdhsa_wavefront_size32 1
		.amdhsa_uses_dynamic_stack 0
		.amdhsa_system_sgpr_private_segment_wavefront_offset 0
		.amdhsa_system_sgpr_workgroup_id_x 1
		.amdhsa_system_sgpr_workgroup_id_y 0
		.amdhsa_system_sgpr_workgroup_id_z 0
		.amdhsa_system_sgpr_workgroup_info 0
		.amdhsa_system_vgpr_workitem_id 0
		.amdhsa_next_free_vgpr 14
		.amdhsa_next_free_sgpr 20
		.amdhsa_reserve_vcc 1
		.amdhsa_reserve_flat_scratch 0
		.amdhsa_float_round_mode_32 0
		.amdhsa_float_round_mode_16_64 0
		.amdhsa_float_denorm_mode_32 3
		.amdhsa_float_denorm_mode_16_64 3
		.amdhsa_dx10_clamp 1
		.amdhsa_ieee_mode 1
		.amdhsa_fp16_overflow 0
		.amdhsa_workgroup_processor_mode 1
		.amdhsa_memory_ordered 1
		.amdhsa_forward_progress 1
		.amdhsa_shared_vgpr_count 0
		.amdhsa_exception_fp_ieee_invalid_op 0
		.amdhsa_exception_fp_denorm_src 0
		.amdhsa_exception_fp_ieee_div_zero 0
		.amdhsa_exception_fp_ieee_overflow 0
		.amdhsa_exception_fp_ieee_underflow 0
		.amdhsa_exception_fp_ieee_inexact 0
		.amdhsa_exception_int_div_zero 0
	.end_amdhsa_kernel
	.section	.text._ZN9rocsparseL38prune_dense2csr_kernel2_device_pointerILi8ELi64EdEEv21rocsparse_index_base_iiPKT1_lS4_PS2_PKiPi,"axG",@progbits,_ZN9rocsparseL38prune_dense2csr_kernel2_device_pointerILi8ELi64EdEEv21rocsparse_index_base_iiPKT1_lS4_PS2_PKiPi,comdat
.Lfunc_end8:
	.size	_ZN9rocsparseL38prune_dense2csr_kernel2_device_pointerILi8ELi64EdEEv21rocsparse_index_base_iiPKT1_lS4_PS2_PKiPi, .Lfunc_end8-_ZN9rocsparseL38prune_dense2csr_kernel2_device_pointerILi8ELi64EdEEv21rocsparse_index_base_iiPKT1_lS4_PS2_PKiPi
                                        ; -- End function
	.set _ZN9rocsparseL38prune_dense2csr_kernel2_device_pointerILi8ELi64EdEEv21rocsparse_index_base_iiPKT1_lS4_PS2_PKiPi.num_vgpr, 14
	.set _ZN9rocsparseL38prune_dense2csr_kernel2_device_pointerILi8ELi64EdEEv21rocsparse_index_base_iiPKT1_lS4_PS2_PKiPi.num_agpr, 0
	.set _ZN9rocsparseL38prune_dense2csr_kernel2_device_pointerILi8ELi64EdEEv21rocsparse_index_base_iiPKT1_lS4_PS2_PKiPi.numbered_sgpr, 20
	.set _ZN9rocsparseL38prune_dense2csr_kernel2_device_pointerILi8ELi64EdEEv21rocsparse_index_base_iiPKT1_lS4_PS2_PKiPi.num_named_barrier, 0
	.set _ZN9rocsparseL38prune_dense2csr_kernel2_device_pointerILi8ELi64EdEEv21rocsparse_index_base_iiPKT1_lS4_PS2_PKiPi.private_seg_size, 0
	.set _ZN9rocsparseL38prune_dense2csr_kernel2_device_pointerILi8ELi64EdEEv21rocsparse_index_base_iiPKT1_lS4_PS2_PKiPi.uses_vcc, 1
	.set _ZN9rocsparseL38prune_dense2csr_kernel2_device_pointerILi8ELi64EdEEv21rocsparse_index_base_iiPKT1_lS4_PS2_PKiPi.uses_flat_scratch, 0
	.set _ZN9rocsparseL38prune_dense2csr_kernel2_device_pointerILi8ELi64EdEEv21rocsparse_index_base_iiPKT1_lS4_PS2_PKiPi.has_dyn_sized_stack, 0
	.set _ZN9rocsparseL38prune_dense2csr_kernel2_device_pointerILi8ELi64EdEEv21rocsparse_index_base_iiPKT1_lS4_PS2_PKiPi.has_recursion, 0
	.set _ZN9rocsparseL38prune_dense2csr_kernel2_device_pointerILi8ELi64EdEEv21rocsparse_index_base_iiPKT1_lS4_PS2_PKiPi.has_indirect_call, 0
	.section	.AMDGPU.csdata,"",@progbits
; Kernel info:
; codeLenInByte = 468
; TotalNumSgprs: 22
; NumVgprs: 14
; ScratchSize: 0
; MemoryBound: 0
; FloatMode: 240
; IeeeMode: 1
; LDSByteSize: 0 bytes/workgroup (compile time only)
; SGPRBlocks: 0
; VGPRBlocks: 1
; NumSGPRsForWavesPerEU: 22
; NumVGPRsForWavesPerEU: 14
; Occupancy: 16
; WaveLimiterHint : 0
; COMPUTE_PGM_RSRC2:SCRATCH_EN: 0
; COMPUTE_PGM_RSRC2:USER_SGPR: 6
; COMPUTE_PGM_RSRC2:TRAP_HANDLER: 0
; COMPUTE_PGM_RSRC2:TGID_X_EN: 1
; COMPUTE_PGM_RSRC2:TGID_Y_EN: 0
; COMPUTE_PGM_RSRC2:TGID_Z_EN: 0
; COMPUTE_PGM_RSRC2:TIDIG_COMP_CNT: 0
	.section	.AMDGPU.gpr_maximums,"",@progbits
	.set amdgpu.max_num_vgpr, 0
	.set amdgpu.max_num_agpr, 0
	.set amdgpu.max_num_sgpr, 0
	.section	.AMDGPU.csdata,"",@progbits
	.type	__hip_cuid_dbd571800ff18746,@object ; @__hip_cuid_dbd571800ff18746
	.section	.bss,"aw",@nobits
	.globl	__hip_cuid_dbd571800ff18746
__hip_cuid_dbd571800ff18746:
	.byte	0                               ; 0x0
	.size	__hip_cuid_dbd571800ff18746, 1

	.ident	"AMD clang version 22.0.0git (https://github.com/RadeonOpenCompute/llvm-project roc-7.2.4 26084 f58b06dce1f9c15707c5f808fd002e18c2accf7e)"
	.section	".note.GNU-stack","",@progbits
	.addrsig
	.addrsig_sym __hip_cuid_dbd571800ff18746
	.amdgpu_metadata
---
amdhsa.kernels:
  - .args:
      - .offset:         0
        .size:           4
        .value_kind:     by_value
      - .actual_access:  read_only
        .address_space:  global
        .offset:         8
        .size:           8
        .value_kind:     global_buffer
      - .actual_access:  write_only
        .address_space:  global
        .offset:         16
        .size:           8
        .value_kind:     global_buffer
    .group_segment_fixed_size: 0
    .kernarg_segment_align: 8
    .kernarg_segment_size: 24
    .language:       OpenCL C
    .language_version:
      - 2
      - 0
    .max_flat_workgroup_size: 1
    .name:           _ZN9rocsparseL23nnz_total_device_kernelEiPKiPi
    .private_segment_fixed_size: 0
    .sgpr_count:     8
    .sgpr_spill_count: 0
    .symbol:         _ZN9rocsparseL23nnz_total_device_kernelEiPKiPi.kd
    .uniform_work_group_size: 1
    .uses_dynamic_stack: false
    .vgpr_count:     2
    .vgpr_spill_count: 0
    .wavefront_size: 32
    .workgroup_processor_mode: 1
  - .args:
      - .offset:         0
        .size:           4
        .value_kind:     by_value
      - .offset:         4
        .size:           4
        .value_kind:     by_value
      - .address_space:  global
        .offset:         8
        .size:           8
        .value_kind:     global_buffer
      - .offset:         16
        .size:           8
        .value_kind:     by_value
      - .address_space:  global
        .offset:         24
        .size:           8
        .value_kind:     global_buffer
    .group_segment_fixed_size: 0
    .kernarg_segment_align: 8
    .kernarg_segment_size: 32
    .language:       OpenCL C
    .language_version:
      - 2
      - 0
    .max_flat_workgroup_size: 256
    .name:           _ZN9rocsparseL10abs_kernelILi256EfEEviiPKT0_lPS1_
    .private_segment_fixed_size: 0
    .sgpr_count:     14
    .sgpr_spill_count: 0
    .symbol:         _ZN9rocsparseL10abs_kernelILi256EfEEviiPKT0_lPS1_.kd
    .uniform_work_group_size: 1
    .uses_dynamic_stack: false
    .vgpr_count:     7
    .vgpr_spill_count: 0
    .wavefront_size: 32
    .workgroup_processor_mode: 1
  - .args:
      - .offset:         0
        .size:           4
        .value_kind:     by_value
      - .offset:         4
        .size:           4
        .value_kind:     by_value
      - .actual_access:  read_only
        .address_space:  global
        .offset:         8
        .size:           8
        .value_kind:     global_buffer
      - .offset:         16
        .size:           8
        .value_kind:     by_value
      - .address_space:  global
        .offset:         24
        .size:           8
        .value_kind:     global_buffer
      - .actual_access:  write_only
        .address_space:  global
        .offset:         32
        .size:           8
        .value_kind:     global_buffer
      - .offset:         40
        .size:           4
        .value_kind:     hidden_block_count_x
      - .offset:         44
        .size:           4
        .value_kind:     hidden_block_count_y
      - .offset:         48
        .size:           4
        .value_kind:     hidden_block_count_z
      - .offset:         52
        .size:           2
        .value_kind:     hidden_group_size_x
      - .offset:         54
        .size:           2
        .value_kind:     hidden_group_size_y
      - .offset:         56
        .size:           2
        .value_kind:     hidden_group_size_z
      - .offset:         58
        .size:           2
        .value_kind:     hidden_remainder_x
      - .offset:         60
        .size:           2
        .value_kind:     hidden_remainder_y
      - .offset:         62
        .size:           2
        .value_kind:     hidden_remainder_z
      - .offset:         80
        .size:           8
        .value_kind:     hidden_global_offset_x
      - .offset:         88
        .size:           8
        .value_kind:     hidden_global_offset_y
      - .offset:         96
        .size:           8
        .value_kind:     hidden_global_offset_z
      - .offset:         104
        .size:           2
        .value_kind:     hidden_grid_dims
    .group_segment_fixed_size: 16384
    .kernarg_segment_align: 8
    .kernarg_segment_size: 296
    .language:       OpenCL C
    .language_version:
      - 2
      - 0
    .max_flat_workgroup_size: 1024
    .name:           _ZN9rocsparseL27prune_dense2csr_nnz_kernel2ILi64ELi16EfEEviiPKT1_lS3_Pi
    .private_segment_fixed_size: 0
    .sgpr_count:     22
    .sgpr_spill_count: 0
    .symbol:         _ZN9rocsparseL27prune_dense2csr_nnz_kernel2ILi64ELi16EfEEviiPKT1_lS3_Pi.kd
    .uniform_work_group_size: 1
    .uses_dynamic_stack: false
    .vgpr_count:     27
    .vgpr_spill_count: 0
    .wavefront_size: 32
    .workgroup_processor_mode: 1
  - .args:
      - .offset:         0
        .size:           4
        .value_kind:     by_value
      - .offset:         4
        .size:           4
        .value_kind:     by_value
      - .address_space:  global
        .offset:         8
        .size:           8
        .value_kind:     global_buffer
      - .offset:         16
        .size:           8
        .value_kind:     by_value
      - .address_space:  global
        .offset:         24
        .size:           8
        .value_kind:     global_buffer
    .group_segment_fixed_size: 0
    .kernarg_segment_align: 8
    .kernarg_segment_size: 32
    .language:       OpenCL C
    .language_version:
      - 2
      - 0
    .max_flat_workgroup_size: 256
    .name:           _ZN9rocsparseL10abs_kernelILi256EdEEviiPKT0_lPS1_
    .private_segment_fixed_size: 0
    .sgpr_count:     14
    .sgpr_spill_count: 0
    .symbol:         _ZN9rocsparseL10abs_kernelILi256EdEEviiPKT0_lPS1_.kd
    .uniform_work_group_size: 1
    .uses_dynamic_stack: false
    .vgpr_count:     7
    .vgpr_spill_count: 0
    .wavefront_size: 32
    .workgroup_processor_mode: 1
  - .args:
      - .offset:         0
        .size:           4
        .value_kind:     by_value
      - .offset:         4
        .size:           4
        .value_kind:     by_value
      - .actual_access:  read_only
        .address_space:  global
        .offset:         8
        .size:           8
        .value_kind:     global_buffer
      - .offset:         16
        .size:           8
        .value_kind:     by_value
      - .address_space:  global
        .offset:         24
        .size:           8
        .value_kind:     global_buffer
      - .actual_access:  write_only
        .address_space:  global
        .offset:         32
        .size:           8
        .value_kind:     global_buffer
      - .offset:         40
        .size:           4
        .value_kind:     hidden_block_count_x
      - .offset:         44
        .size:           4
        .value_kind:     hidden_block_count_y
      - .offset:         48
        .size:           4
        .value_kind:     hidden_block_count_z
      - .offset:         52
        .size:           2
        .value_kind:     hidden_group_size_x
      - .offset:         54
        .size:           2
        .value_kind:     hidden_group_size_y
      - .offset:         56
        .size:           2
        .value_kind:     hidden_group_size_z
      - .offset:         58
        .size:           2
        .value_kind:     hidden_remainder_x
      - .offset:         60
        .size:           2
        .value_kind:     hidden_remainder_y
      - .offset:         62
        .size:           2
        .value_kind:     hidden_remainder_z
      - .offset:         80
        .size:           8
        .value_kind:     hidden_global_offset_x
      - .offset:         88
        .size:           8
        .value_kind:     hidden_global_offset_y
      - .offset:         96
        .size:           8
        .value_kind:     hidden_global_offset_z
      - .offset:         104
        .size:           2
        .value_kind:     hidden_grid_dims
    .group_segment_fixed_size: 16384
    .kernarg_segment_align: 8
    .kernarg_segment_size: 296
    .language:       OpenCL C
    .language_version:
      - 2
      - 0
    .max_flat_workgroup_size: 1024
    .name:           _ZN9rocsparseL27prune_dense2csr_nnz_kernel2ILi64ELi16EdEEviiPKT1_lS3_Pi
    .private_segment_fixed_size: 0
    .sgpr_count:     23
    .sgpr_spill_count: 0
    .symbol:         _ZN9rocsparseL27prune_dense2csr_nnz_kernel2ILi64ELi16EdEEviiPKT1_lS3_Pi.kd
    .uniform_work_group_size: 1
    .uses_dynamic_stack: false
    .vgpr_count:     29
    .vgpr_spill_count: 0
    .wavefront_size: 32
    .workgroup_processor_mode: 1
  - .args:
      - .offset:         0
        .size:           4
        .value_kind:     by_value
      - .offset:         4
        .size:           4
        .value_kind:     by_value
      - .offset:         8
        .size:           4
        .value_kind:     by_value
      - .actual_access:  read_only
        .address_space:  global
        .offset:         16
        .size:           8
        .value_kind:     global_buffer
      - .offset:         24
        .size:           8
        .value_kind:     by_value
      - .address_space:  global
        .offset:         32
        .size:           8
        .value_kind:     global_buffer
      - .actual_access:  write_only
        .address_space:  global
        .offset:         40
        .size:           8
        .value_kind:     global_buffer
      - .actual_access:  read_only
        .address_space:  global
        .offset:         48
        .size:           8
        .value_kind:     global_buffer
      - .actual_access:  write_only
        .address_space:  global
        .offset:         56
        .size:           8
        .value_kind:     global_buffer
    .group_segment_fixed_size: 0
    .kernarg_segment_align: 8
    .kernarg_segment_size: 64
    .language:       OpenCL C
    .language_version:
      - 2
      - 0
    .max_flat_workgroup_size: 512
    .name:           _ZN9rocsparseL38prune_dense2csr_kernel2_device_pointerILi16ELi32EfEEv21rocsparse_index_base_iiPKT1_lS4_PS2_PKiPi
    .private_segment_fixed_size: 0
    .sgpr_count:     22
    .sgpr_spill_count: 0
    .symbol:         _ZN9rocsparseL38prune_dense2csr_kernel2_device_pointerILi16ELi32EfEEv21rocsparse_index_base_iiPKT1_lS4_PS2_PKiPi.kd
    .uniform_work_group_size: 1
    .uses_dynamic_stack: false
    .vgpr_count:     13
    .vgpr_spill_count: 0
    .wavefront_size: 32
    .workgroup_processor_mode: 1
  - .args:
      - .offset:         0
        .size:           4
        .value_kind:     by_value
      - .offset:         4
        .size:           4
        .value_kind:     by_value
      - .offset:         8
        .size:           4
        .value_kind:     by_value
      - .actual_access:  read_only
        .address_space:  global
        .offset:         16
        .size:           8
        .value_kind:     global_buffer
      - .offset:         24
        .size:           8
        .value_kind:     by_value
      - .address_space:  global
        .offset:         32
        .size:           8
        .value_kind:     global_buffer
      - .actual_access:  write_only
        .address_space:  global
        .offset:         40
        .size:           8
        .value_kind:     global_buffer
      - .actual_access:  read_only
        .address_space:  global
        .offset:         48
        .size:           8
        .value_kind:     global_buffer
      - .actual_access:  write_only
        .address_space:  global
        .offset:         56
        .size:           8
        .value_kind:     global_buffer
    .group_segment_fixed_size: 0
    .kernarg_segment_align: 8
    .kernarg_segment_size: 64
    .language:       OpenCL C
    .language_version:
      - 2
      - 0
    .max_flat_workgroup_size: 1024
    .name:           _ZN9rocsparseL38prune_dense2csr_kernel2_device_pointerILi16ELi64EfEEv21rocsparse_index_base_iiPKT1_lS4_PS2_PKiPi
    .private_segment_fixed_size: 0
    .sgpr_count:     22
    .sgpr_spill_count: 0
    .symbol:         _ZN9rocsparseL38prune_dense2csr_kernel2_device_pointerILi16ELi64EfEEv21rocsparse_index_base_iiPKT1_lS4_PS2_PKiPi.kd
    .uniform_work_group_size: 1
    .uses_dynamic_stack: false
    .vgpr_count:     13
    .vgpr_spill_count: 0
    .wavefront_size: 32
    .workgroup_processor_mode: 1
  - .args:
      - .offset:         0
        .size:           4
        .value_kind:     by_value
      - .offset:         4
        .size:           4
        .value_kind:     by_value
      - .offset:         8
        .size:           4
        .value_kind:     by_value
      - .actual_access:  read_only
        .address_space:  global
        .offset:         16
        .size:           8
        .value_kind:     global_buffer
      - .offset:         24
        .size:           8
        .value_kind:     by_value
      - .address_space:  global
        .offset:         32
        .size:           8
        .value_kind:     global_buffer
      - .actual_access:  write_only
        .address_space:  global
        .offset:         40
        .size:           8
        .value_kind:     global_buffer
      - .actual_access:  read_only
        .address_space:  global
        .offset:         48
        .size:           8
        .value_kind:     global_buffer
      - .actual_access:  write_only
        .address_space:  global
        .offset:         56
        .size:           8
        .value_kind:     global_buffer
    .group_segment_fixed_size: 0
    .kernarg_segment_align: 8
    .kernarg_segment_size: 64
    .language:       OpenCL C
    .language_version:
      - 2
      - 0
    .max_flat_workgroup_size: 256
    .name:           _ZN9rocsparseL38prune_dense2csr_kernel2_device_pointerILi8ELi32EdEEv21rocsparse_index_base_iiPKT1_lS4_PS2_PKiPi
    .private_segment_fixed_size: 0
    .sgpr_count:     22
    .sgpr_spill_count: 0
    .symbol:         _ZN9rocsparseL38prune_dense2csr_kernel2_device_pointerILi8ELi32EdEEv21rocsparse_index_base_iiPKT1_lS4_PS2_PKiPi.kd
    .uniform_work_group_size: 1
    .uses_dynamic_stack: false
    .vgpr_count:     14
    .vgpr_spill_count: 0
    .wavefront_size: 32
    .workgroup_processor_mode: 1
  - .args:
      - .offset:         0
        .size:           4
        .value_kind:     by_value
      - .offset:         4
        .size:           4
        .value_kind:     by_value
      - .offset:         8
        .size:           4
        .value_kind:     by_value
      - .actual_access:  read_only
        .address_space:  global
        .offset:         16
        .size:           8
        .value_kind:     global_buffer
      - .offset:         24
        .size:           8
        .value_kind:     by_value
      - .address_space:  global
        .offset:         32
        .size:           8
        .value_kind:     global_buffer
      - .actual_access:  write_only
        .address_space:  global
        .offset:         40
        .size:           8
        .value_kind:     global_buffer
      - .actual_access:  read_only
        .address_space:  global
        .offset:         48
        .size:           8
        .value_kind:     global_buffer
      - .actual_access:  write_only
        .address_space:  global
        .offset:         56
        .size:           8
        .value_kind:     global_buffer
    .group_segment_fixed_size: 0
    .kernarg_segment_align: 8
    .kernarg_segment_size: 64
    .language:       OpenCL C
    .language_version:
      - 2
      - 0
    .max_flat_workgroup_size: 512
    .name:           _ZN9rocsparseL38prune_dense2csr_kernel2_device_pointerILi8ELi64EdEEv21rocsparse_index_base_iiPKT1_lS4_PS2_PKiPi
    .private_segment_fixed_size: 0
    .sgpr_count:     22
    .sgpr_spill_count: 0
    .symbol:         _ZN9rocsparseL38prune_dense2csr_kernel2_device_pointerILi8ELi64EdEEv21rocsparse_index_base_iiPKT1_lS4_PS2_PKiPi.kd
    .uniform_work_group_size: 1
    .uses_dynamic_stack: false
    .vgpr_count:     14
    .vgpr_spill_count: 0
    .wavefront_size: 32
    .workgroup_processor_mode: 1
amdhsa.target:   amdgcn-amd-amdhsa--gfx1030
amdhsa.version:
  - 1
  - 2
...

	.end_amdgpu_metadata
